;; amdgpu-corpus repo=ROCm/aiter kind=harvested arch=n/a opt=n/a

/root/src/amdgpu-assembly/repos/ROCm__aiter/hsa/gfx942/fmoe/gelu/fmoe_bf16_pertokenFp8_g1u1_vs_gelu_1tg_32x384.co:	file format elf64-amdgpu

Disassembly of section .text:

0000000000002e00 <_ZN5aiter45fmoe_bf16_pertokenFp8_g1u1_vs_gelu_1tg_32x384E>:
	s_and_b32 s1, s1, 0xffff                                   // 000000002E00: 8601FF01 0000FFFF
	s_load_dwordx2 s[8:9], s[0:1], 0x0                         // 000000002E08: C0060200 00000000
	s_load_dwordx2 s[20:21], s[0:1], 0x10                      // 000000002E10: C0060500 00000010
	s_load_dwordx2 s[24:25], s[0:1], 0x20                      // 000000002E18: C0060600 00000020
	s_load_dwordx2 s[50:51], s[0:1], 0x30                      // 000000002E20: C0060C80 00000030
	s_load_dwordx2 s[12:13], s[0:1], 0x40                      // 000000002E28: C0060300 00000040
	s_load_dwordx2 s[28:29], s[0:1], 0x50                      // 000000002E30: C0060700 00000050
	s_load_dwordx2 s[32:33], s[0:1], 0x60                      // 000000002E38: C0060800 00000060
	s_load_dwordx2 s[16:17], s[0:1], 0x70                      // 000000002E40: C0060400 00000070
	s_load_dwordx2 s[36:37], s[0:1], 0x80                      // 000000002E48: C0060900 00000080
	s_load_dwordx2 s[44:45], s[0:1], 0x90                      // 000000002E50: C0060B00 00000090
	s_load_dwordx2 s[40:41], s[0:1], 0xa0                      // 000000002E58: C0060A00 000000A0
	s_load_dwordx2 s[46:47], s[0:1], 0xb0                      // 000000002E60: C0060B80 000000B0
	s_load_dword s64, s[0:1], 0xc0                             // 000000002E68: C0021000 000000C0
	s_load_dword s65, s[0:1], 0xd0                             // 000000002E70: C0021040 000000D0
	s_load_dword s66, s[0:1], 0xe0                             // 000000002E78: C0021080 000000E0
	s_load_dword s67, s[0:1], 0xf0                             // 000000002E80: C00210C0 000000F0
	s_load_dword s68, s[0:1], 0x100                            // 000000002E88: C0021100 00000100
	s_load_dword s69, s[0:1], 0x110                            // 000000002E90: C0021140 00000110
	s_load_dword s70, s[0:1], 0x120                            // 000000002E98: C0021180 00000120
	s_load_dword s71, s[0:1], 0x130                            // 000000002EA0: C00211C0 00000130
	s_load_dword s72, s[0:1], 0x140                            // 000000002EA8: C0021200 00000140
	s_load_dword s73, s[0:1], 0x150                            // 000000002EB0: C0021240 00000150
	s_load_dword s74, s[0:1], 0x160                            // 000000002EB8: C0021280 00000160
	s_load_dword s75, s[0:1], 0x170                            // 000000002EC0: C00212C0 00000170
	s_load_dword s76, s[0:1], 0x180                            // 000000002EC8: C0021300 00000180
	v_lshrrev_b32_e32 v1, 10, v0                               // 000000002ED0: 2002008A
	v_lshrrev_b32_e32 v2, 10, v1                               // 000000002ED4: 2004028A
	v_and_b32_e32 v2, 0x3ff, v2                                // 000000002ED8: 260404FF 000003FF
	v_and_b32_e32 v1, 0x3ff, v1                                // 000000002EE0: 260202FF 000003FF
	v_and_b32_e32 v0, 0x3ff, v0                                // 000000002EE8: 260000FF 000003FF
	v_lshrrev_b32_e32 v3, 6, v0                                // 000000002EF0: 20060086
	v_and_b32_e32 v0, 63, v0                                   // 000000002EF4: 260000BF
	s_mov_b32 s2, s2                                           // 000000002EF8: BE820002
	s_mov_b32 s3, s3                                           // 000000002EFC: BE830003
	s_mov_b32 s4, s4                                           // 000000002F00: BE840004
	v_readfirstlane_b32 s7, v3                                 // 000000002F04: 7E0E0503
	s_waitcnt lgkmcnt(0)                                       // 000000002F08: BF8CC07F
	s_and_b32 s51, s51, 0xffff                                 // 000000002F0C: 8633FF33 0000FFFF
	s_load_dword s50, s[50:51], 0x0                            // 000000002F14: C0020C99 00000000
	s_and_b32 s45, s45, 0xffff                                 // 000000002F1C: 862DFF2D 0000FFFF
	s_and_b32 s47, s47, 0xffff                                 // 000000002F24: 862FFF2F 0000FFFF
	s_and_b32 s9, s9, 0xffff                                   // 000000002F2C: 8609FF09 0000FFFF
	s_mul_i32 s60, s66, s68                                    // 000000002F34: 923C4442
	s_mul_i32 s61, s66, 4                                      // 000000002F38: 923D8442
	s_mov_b32 s22, s60                                         // 000000002F3C: BE96003C
	s_mov_b32 s26, -16                                         // 000000002F40: BE9A00D0
	s_mov_b32 s14, -16                                         // 000000002F44: BE8E00D0
	s_mov_b32 s42, -16                                         // 000000002F48: BEAA00D0
	s_mov_b32 s30, s61                                         // 000000002F4C: BE9E003D
	s_mov_b32 s34, 0x600                                       // 000000002F50: BEA200FF 00000600
	s_mov_b32 s38, 0x600                                       // 000000002F58: BEA600FF 00000600
	s_mov_b32 s18, -16                                         // 000000002F60: BE9200D0
	s_mov_b32 s23, 0x20000                                     // 000000002F64: BE9700FF 00020000
	s_mov_b32 s27, 0x20000                                     // 000000002F6C: BE9B00FF 00020000
	s_mov_b32 s15, 0x20000                                     // 000000002F74: BE8F00FF 00020000
	s_mov_b32 s43, 0x20000                                     // 000000002F7C: BEAB00FF 00020000
	s_mov_b32 s31, 0x20000                                     // 000000002F84: BE9F00FF 00020000
	s_mov_b32 s35, 0x20000                                     // 000000002F8C: BEA300FF 00020000
	s_mov_b32 s39, 0x20000                                     // 000000002F94: BEA700FF 00020000
	s_mov_b32 s19, 0x20000                                     // 000000002F9C: BE9300FF 00020000
	s_and_b32 s21, s21, 0xffff                                 // 000000002FA4: 8615FF15 0000FFFF
	s_and_b32 s25, s25, 0xffff                                 // 000000002FAC: 8619FF19 0000FFFF
	s_and_b32 s13, s13, 0xffff                                 // 000000002FB4: 860DFF0D 0000FFFF
	s_and_b32 s41, s41, 0xffff                                 // 000000002FBC: 8629FF29 0000FFFF
	s_and_b32 s29, s29, 0xffff                                 // 000000002FC4: 861DFF1D 0000FFFF
	s_and_b32 s33, s33, 0xffff                                 // 000000002FCC: 8621FF21 0000FFFF
	s_and_b32 s37, s37, 0xffff                                 // 000000002FD4: 8625FF25 0000FFFF
	s_and_b32 s17, s17, 0xffff                                 // 000000002FDC: 8611FF11 0000FFFF
	s_or_b32 s21, s21, 0x40000                                 // 000000002FE4: 8715FF15 00040000
	s_or_b32 s25, s25, 0x40000                                 // 000000002FEC: 8719FF19 00040000
	s_or_b32 s13, s13, 0x40000                                 // 000000002FF4: 870DFF0D 00040000
	s_or_b32 s41, s41, 0x40000                                 // 000000002FFC: 8729FF29 00040000
	s_or_b32 s29, s29, 0x40000                                 // 000000003004: 871DFF1D 00040000
	s_or_b32 s33, s33, 0x40000                                 // 00000000300C: 8721FF21 00040000
	s_or_b32 s37, s37, 0x40000                                 // 000000003014: 8725FF25 00040000
	s_or_b32 s17, s17, 0x40000                                 // 00000000301C: 8711FF11 00040000
	v_accvgpr_write_b32 a191, 0                                // 000000003024: D3D940BF 18000080
	v_mov_b32_e32 v239, 0                                      // 00000000302C: 7FDE0280
	s_waitcnt lgkmcnt(0)                                       // 000000003030: BF8CC07F
	s_mul_i32 s60, s3, 32                                      // 000000003034: 923CA003
	s_cmp_lt_i32 s60, s50                                      // 000000003038: BF04323C
	s_cbranch_scc0 label_22C2                                  // 00000000303C: BF842232
	s_mov_b32 s80, 0                                           // 000000003040: BED00080
	s_mov_b32 s81, s64                                         // 000000003044: BED10040
	s_mul_i32 s60, s3, 4                                       // 000000003048: 923C8403
	s_add_u32 s46, s60, s46                                    // 00000000304C: 802E2E3C
	s_addc_u32 s47, 0, s47                                     // 000000003050: 822F2F80
	s_load_dword s5, s[46:47], 0x0                             // 000000003054: C0020157 00000000
	s_mul_i32 s60, s3, 32                                      // 00000000305C: 923CA003
	s_mul_i32 s60, 4, s60                                      // 000000003060: 923C3C84
	v_and_b32_e32 v50, 15, v0                                  // 000000003064: 2664008F
	v_lshlrev_b32_e32 v50, 2, v50                              // 000000003068: 24646482
	v_add_u32_e32 v50, s60, v50                                // 00000000306C: 6864643C
	v_mov_b32_e32 v51, 0                                       // 000000003070: 7E660280
	global_load_dword v6, v50, s[44:45]                        // 000000003074: DC508000 062C0032
	v_add_u32_e32 v50, 64, v50                                 // 00000000307C: 686464C0
	global_load_dword v7, v50, s[44:45]                        // 000000003080: DC508000 072C0032
	s_mul_i32 s60, s3, 32                                      // 000000003088: 923CA003
	s_add_u32 s60, s7, s60                                     // 00000000308C: 803C3C07
	s_mul_i32 s60, 4, s60                                      // 000000003090: 923C3C84
	s_add_u32 s44, s60, s44                                    // 000000003094: 802C2C3C
	s_addc_u32 s45, 0, s45                                     // 000000003098: 822D2D80
	s_load_dword s82, s[44:45], 0x0                            // 00000000309C: C0021496 00000000
	s_load_dword s83, s[44:45], 0x10                           // 0000000030A4: C00214D6 00000010
	s_load_dword s84, s[44:45], 0x20                           // 0000000030AC: C0021516 00000020
	s_load_dword s85, s[44:45], 0x30                           // 0000000030B4: C0021556 00000030
	s_load_dword s86, s[44:45], 0x40                           // 0000000030BC: C0021596 00000040
	s_load_dword s87, s[44:45], 0x50                           // 0000000030C4: C00215D6 00000050
	s_load_dword s88, s[44:45], 0x60                           // 0000000030CC: C0021616 00000060
	s_load_dword s89, s[44:45], 0x70                           // 0000000030D4: C0021656 00000070
	s_waitcnt lgkmcnt(0)                                       // 0000000030DC: BF8CC07F
	v_lshlrev_b32_e32 v50, 2, v0                               // 0000000030E0: 24640082
	s_and_b32 s82, s82, 0xffffff                               // 0000000030E4: 8652FF52 00FFFFFF
	s_mul_i32 s60, s82, s68                                    // 0000000030EC: 923C4452
	v_add_u32_e64 v26, v50, s60                                // 0000000030F0: D134001A 00007932
	s_and_b32 s83, s83, 0xffffff                               // 0000000030F8: 8653FF53 00FFFFFF
	s_mul_i32 s60, s83, s68                                    // 000000003100: 923C4453
	v_add_u32_e64 v27, v50, s60                                // 000000003104: D134001B 00007932
	s_and_b32 s84, s84, 0xffffff                               // 00000000310C: 8654FF54 00FFFFFF
	s_mul_i32 s60, s84, s68                                    // 000000003114: 923C4454
	v_add_u32_e64 v28, v50, s60                                // 000000003118: D134001C 00007932
	s_and_b32 s85, s85, 0xffffff                               // 000000003120: 8655FF55 00FFFFFF
	s_mul_i32 s60, s85, s68                                    // 000000003128: 923C4455
	v_add_u32_e64 v29, v50, s60                                // 00000000312C: D134001D 00007932
	s_and_b32 s86, s86, 0xffffff                               // 000000003134: 8656FF56 00FFFFFF
	s_mul_i32 s60, s86, s68                                    // 00000000313C: 923C4456
	v_add_u32_e64 v30, v50, s60                                // 000000003140: D134001E 00007932
	s_and_b32 s87, s87, 0xffffff                               // 000000003148: 8657FF57 00FFFFFF
	s_mul_i32 s60, s87, s68                                    // 000000003150: 923C4457
	v_add_u32_e64 v31, v50, s60                                // 000000003154: D134001F 00007932
	s_and_b32 s88, s88, 0xffffff                               // 00000000315C: 8658FF58 00FFFFFF
	s_mul_i32 s60, s88, s68                                    // 000000003164: 923C4458
	v_add_u32_e64 v32, v50, s60                                // 000000003168: D1340020 00007932
	s_and_b32 s89, s89, 0xffffff                               // 000000003170: 8659FF59 00FFFFFF
	s_mul_i32 s60, s89, s68                                    // 000000003178: 923C4459
	v_add_u32_e64 v33, v50, s60                                // 00000000317C: D1340021 00007932
	v_lshlrev_b32_e32 v50, 2, v0                               // 000000003184: 24640082
	s_mul_i32 s60, s82, s71                                    // 000000003188: 923C4752
	v_add_u32_e64 v80, v50, s60                                // 00000000318C: D1340050 00007932
	v_mov_b32_e32 v81, 0                                       // 000000003194: 7EA20280
	s_mul_i32 s60, s83, s71                                    // 000000003198: 923C4753
	v_add_u32_e64 v82, v50, s60                                // 00000000319C: D1340052 00007932
	v_mov_b32_e32 v83, 0                                       // 0000000031A4: 7EA60280
	s_mul_i32 s60, s84, s71                                    // 0000000031A8: 923C4754
	v_add_u32_e64 v84, v50, s60                                // 0000000031AC: D1340054 00007932
	v_mov_b32_e32 v85, 0                                       // 0000000031B4: 7EAA0280
	s_mul_i32 s60, s85, s71                                    // 0000000031B8: 923C4755
	v_add_u32_e64 v86, v50, s60                                // 0000000031BC: D1340056 00007932
	v_mov_b32_e32 v87, 0                                       // 0000000031C4: 7EAE0280
	s_mul_i32 s60, s86, s71                                    // 0000000031C8: 923C4756
	v_add_u32_e64 v88, v50, s60                                // 0000000031CC: D1340058 00007932
	v_mov_b32_e32 v89, 0                                       // 0000000031D4: 7EB20280
	s_mul_i32 s60, s87, s71                                    // 0000000031D8: 923C4757
	v_add_u32_e64 v90, v50, s60                                // 0000000031DC: D134005A 00007932
	v_mov_b32_e32 v91, 0                                       // 0000000031E4: 7EB60280
	s_mul_i32 s60, s88, s71                                    // 0000000031E8: 923C4758
	v_add_u32_e64 v92, v50, s60                                // 0000000031EC: D134005C 00007932
	v_mov_b32_e32 v93, 0                                       // 0000000031F4: 7EBA0280
	s_mul_i32 s60, s89, s71                                    // 0000000031F8: 923C4759
	v_add_u32_e64 v94, v50, s60                                // 0000000031FC: D134005E 00007932
	v_mov_b32_e32 v95, 0                                       // 000000003204: 7EBE0280
	s_mul_i32 s60, s7, 0x820                                   // 000000003208: 923CFF07 00000820
	s_add_u32 s50, 0, s60                                      // 000000003210: 80323C80
	s_add_u32 s51, 0x2080, s50                                 // 000000003214: 803332FF 00002080
	v_lshrrev_b32_e32 v50, 4, v0                               // 00000000321C: 20640084
	v_lshlrev_b32_e32 v51, 2, v50                              // 000000003220: 24666482
	v_and_b32_e32 v50, 15, v0                                  // 000000003224: 2664008F
	v_lshrrev_b32_e32 v52, 2, v50                              // 000000003228: 20686482
	v_lshlrev_b32_e32 v52, 6, v52                              // 00000000322C: 24686886
	v_add_u32_e32 v51, v52, v51                                // 000000003230: 68666734
	v_and_b32_e32 v50, 3, v0                                   // 000000003234: 26640083
	v_mul_i32_i24_e32 v52, 0x208, v50                          // 000000003238: 0C6864FF 00000208
	v_add_u32_e32 v51, v52, v51                                // 000000003240: 68666734
	v_lshlrev_b32_e32 v2, 2, v51                               // 000000003244: 24046682
	s_mul_i32 s60, s2, 0x180                                   // 000000003248: 923CFF02 00000180
	s_mul_i32 s60, s60, s69                                    // 000000003250: 923C453C
	s_mul_i32 s61, s5, s72                                     // 000000003254: 923D4805
	s_add_u32 s60, s61, s60                                    // 000000003258: 803C3C3D
	s_add_u32 s24, s60, s24                                    // 00000000325C: 8018183C
	s_addc_u32 s25, 0, s25                                     // 000000003260: 82191980
	s_mul_i32 s60, s7, 16                                      // 000000003264: 923C9007
	s_mul_i32 s60, s60, s69                                    // 000000003268: 923C453C
	v_lshlrev_b32_e32 v34, 4, v0                               // 00000000326C: 24440084
	v_add_u32_e32 v34, s60, v34                                // 000000003270: 6844443C
	s_mul_i32 s60, 64, s69                                     // 000000003274: 923C45C0
	v_add_u32_e32 v35, s60, v34                                // 000000003278: 6846443C
	v_add_u32_e32 v36, s60, v35                                // 00000000327C: 6848463C
	v_add_u32_e32 v37, s60, v36                                // 000000003280: 684A483C
	v_add_u32_e32 v38, s60, v37                                // 000000003284: 684C4A3C
	v_add_u32_e32 v39, s60, v38                                // 000000003288: 684E4C3C
	s_mov_b32 s92, s24                                         // 00000000328C: BEDC0018
	s_mov_b32 s93, s25                                         // 000000003290: BEDD0019
	s_mov_b32 s94, s26                                         // 000000003294: BEDE001A
	s_mov_b32 s95, s27                                         // 000000003298: BEDF001B
	s_mul_i32 s60, s69, s65                                    // 00000000329C: 923C4145
	s_add_u32 s92, s60, s92                                    // 0000000032A0: 805C5C3C
	s_addc_u32 s93, 0, s93                                     // 0000000032A4: 825D5D80
	s_mul_i32 s60, s2, 0x1800                                  // 0000000032A8: 923CFF02 00001800
	s_mul_i32 s61, s5, s73                                     // 0000000032B0: 923D4905
	s_add_u32 s60, s61, s60                                    // 0000000032B4: 803C3C3D
	s_add_u32 s12, s60, s12                                    // 0000000032B8: 800C0C3C
	s_addc_u32 s13, 0, s13                                     // 0000000032BC: 820D0D80
	s_mul_i32 s60, s7, 16                                      // 0000000032C0: 923C9007
	s_mul_i32 s60, s60, s70                                    // 0000000032C4: 923C463C
	v_lshlrev_b32_e32 v40, 4, v0                               // 0000000032C8: 24500084
	v_add_u32_e32 v40, s60, v40                                // 0000000032CC: 6850503C
	s_mul_i32 s60, 64, s70                                     // 0000000032D0: 923C46C0
	v_add_u32_e32 v41, s60, v40                                // 0000000032D4: 6852503C
	v_add_u32_e32 v42, s60, v41                                // 0000000032D8: 6854523C
	v_add_u32_e32 v43, s60, v42                                // 0000000032DC: 6856543C
	s_mul_i32 s60, s70, 0x100                                  // 0000000032E0: 923CFF46 00000100
	s_mov_b32 s78, 0x400                                       // 0000000032E8: BECE00FF 00000400
	s_mul_i32 s61, s78, 5                                      // 0000000032F0: 923D854E
	s_sub_u32 s56, s60, s61                                    // 0000000032F4: 80B83D3C
	s_mul_i32 s60, s3, 32                                      // 0000000032F8: 923CA003
	s_mul_i32 s60, 4, s60                                      // 0000000032FC: 923C3C84
	s_add_u32 s40, s60, s40                                    // 000000003300: 8028283C
	s_addc_u32 s41, 0, s41                                     // 000000003304: 82292980
	v_and_b32_e32 v50, 15, v0                                  // 000000003308: 2664008F
	v_lshlrev_b32_e32 v8, 2, v50                               // 00000000330C: 24106482
	v_add_u32_e32 v9, 64, v8                                   // 000000003310: 681210C0
	v_lshrrev_b32_e32 v50, 4, v0                               // 000000003314: 20640084
	v_lshlrev_b32_e32 v51, 2, v50                              // 000000003318: 24666482
	v_and_b32_e32 v50, 15, v0                                  // 00000000331C: 2664008F
	v_lshrrev_b32_e32 v52, 2, v50                              // 000000003320: 20686482
	v_lshlrev_b32_e32 v52, 6, v52                              // 000000003324: 24686886
	v_add_u32_e32 v51, v52, v51                                // 000000003328: 68666734
	v_and_b32_e32 v50, 3, v0                                   // 00000000332C: 26640083
	v_add_u32_e32 v51, v50, v51                                // 000000003330: 68666732
	v_lshlrev_b32_e32 v10, 2, v51                              // 000000003334: 24146682
	v_add_u32_e32 v11, 0x400, v10                              // 000000003338: 681614FF 00000400
	s_mul_i32 s60, s7, 16                                      // 000000003340: 923C9007
	s_mul_i32 s60, s60, 4                                      // 000000003344: 923C843C
	v_add_u32_e32 v10, s60, v10                                // 000000003348: 6814143C
	v_add_u32_e32 v11, s60, v11                                // 00000000334C: 6816163C
	v_mov_b32_e32 v5, v10                                      // 000000003350: 7E0A030A
	s_mul_i32 s60, s2, 0x180                                   // 000000003354: 923CFF02 00000180
	s_mul_i32 s60, s60, 4                                      // 00000000335C: 923C843C
	s_mul_i32 s61, s5, s74                                     // 000000003360: 923D4A05
	s_add_u32 s61, s61, s60                                    // 000000003364: 803D3C3D
	s_mul_i32 s62, s5, s76                                     // 000000003368: 923E4C05
	s_add_u32 s62, s62, s60                                    // 00000000336C: 803E3C3E
	s_add_u32 s32, s61, s32                                    // 000000003370: 8020203D
	s_addc_u32 s33, 0, s33                                     // 000000003374: 82212180
	s_add_u32 s36, s62, s36                                    // 000000003378: 8024243E
	s_addc_u32 s37, 0, s37                                     // 00000000337C: 82252580
	s_mul_i32 s60, s5, s75                                     // 000000003380: 923C4B05
	s_add_u32 s16, s60, s16                                    // 000000003384: 8010103C
	s_addc_u32 s17, 0, s17                                     // 000000003388: 82111180
	s_mov_b32 s57, 0x100                                       // 00000000338C: BEB900FF 00000100
	s_mov_b32 s58, 0x1000                                      // 000000003394: BEBA00FF 00001000
	s_mov_b32 s79, 0x400                                       // 00000000339C: BECF00FF 00000400
	s_mov_b32 s59, 0                                           // 0000000033A4: BEBB0080
	s_mov_b32 s90, s58                                         // 0000000033A8: BEDA003A
	s_mov_b32 s52, 0x7060302                                   // 0000000033AC: BEB400FF 07060302
	s_mov_b32 s53, 0x400                                       // 0000000033B4: BEB500FF 00000400
	s_mov_b32 s54, 0x40100                                     // 0000000033BC: BEB600FF 00040100
	s_mov_b32 s55, 0x4020100                                   // 0000000033C4: BEB700FF 04020100
	s_mov_b32 s6, 0x3fb8aa3b                                   // 0000000033CC: BE8600FF 3FB8AA3B
	s_mov_b32 s77, 0xbd92220c                                  // 0000000033D4: BECD00FF BD92220C
	s_mov_b32 m0, s50                                          // 0000000033DC: BEFC0032
	v_mov_b32_e32 v1, 0xbfcc4231                               // 0000000033E0: 7E0202FF BFCC4231
	v_mov_b32_e32 v45, 0xffff0000                              // 0000000033E8: 7E5A02FF FFFF0000
	v_mov_b32_e32 v46, 0x7fff0000                              // 0000000033F0: 7E5C02FF 7FFF0000
	v_mov_b32_e32 v47, 0x7fff                                  // 0000000033F8: 7E5E02FF 00007FFF
	s_waitcnt vmcnt(0) expcnt(0) lgkmcnt(0)                    // 000000003400: BF8C0000
	v_and_b32_e32 v6, 0xffffff, v6                             // 000000003404: 260C0CFF 00FFFFFF
	v_and_b32_e32 v7, 0xffffff, v7                             // 00000000340C: 260E0EFF 00FFFFFF
	v_lshlrev_b32_e32 v6, 2, v6                                // 000000003414: 240C0C82
	v_lshlrev_b32_e32 v7, 2, v7                                // 000000003418: 240E0E82
	buffer_load_dword v14, v6, s[28:31], 0 offen               // 00000000341C: E0501000 80070E06
	buffer_load_dword v15, v7, s[28:31], 0 offen               // 000000003424: E0501000 80070F07
	buffer_load_dword v16, v10, s[32:35], 0 offen              // 00000000342C: E0501000 8008100A
	buffer_load_dword v17, v11, s[32:35], 0 offen              // 000000003434: E0501000 8008110B
	s_mul_i32 s60, 4, s65                                      // 00000000343C: 923C4184
	s_add_u32 s32, s60, s32                                    // 000000003440: 8020203C
	s_addc_u32 s33, 0, s33                                     // 000000003444: 82212180
	buffer_load_dword v48, v10, s[32:35], 0 offen              // 000000003448: E0501000 8008300A
	buffer_load_dword v49, v11, s[32:35], 0 offen              // 000000003450: E0501000 8008310B
	buffer_load_dword v20, v8, s[40:43], 0 offen               // 000000003458: E0501000 800A1408
	buffer_load_dword v21, v9, s[40:43], 0 offen               // 000000003460: E0501000 800A1509
	buffer_load_dword v26, s[20:23], 0 offen lds               // 000000003468: E0511000 8005001A
	s_add_u32 m0, 0x100, s50                                   // 000000003470: 807C32FF 00000100
	buffer_load_dword v27, s[20:23], 0 offen lds               // 000000003478: E0511000 8005001B
	s_add_u32 m0, 0x200, s50                                   // 000000003480: 807C32FF 00000200
	buffer_load_dword v28, s[20:23], 0 offen lds               // 000000003488: E0511000 8005001C
	s_add_u32 m0, 0x300, s50                                   // 000000003490: 807C32FF 00000300
	buffer_load_dword v29, s[20:23], 0 offen lds               // 000000003498: E0511000 8005001D
	s_add_u32 m0, 0x400, s50                                   // 0000000034A0: 807C32FF 00000400
	buffer_load_dword v30, s[20:23], 0 offen lds               // 0000000034A8: E0511000 8005001E
	s_add_u32 m0, 0x500, s50                                   // 0000000034B0: 807C32FF 00000500
	buffer_load_dword v31, s[20:23], 0 offen lds               // 0000000034B8: E0511000 8005001F
	s_add_u32 m0, 0x600, s50                                   // 0000000034C0: 807C32FF 00000600
	buffer_load_dword v32, s[20:23], 0 offen lds               // 0000000034C8: E0511000 80050020
	s_add_u32 m0, 0x700, s50                                   // 0000000034D0: 807C32FF 00000700
	buffer_load_dword v33, s[20:23], 0 offen lds               // 0000000034D8: E0511000 80050021
	s_add_u32 m0, 0, s51                                       // 0000000034E0: 807C3380
	s_add_u32 s20, s57, s20                                    // 0000000034E4: 80141439
	s_addc_u32 s21, 0, s21                                     // 0000000034E8: 82151580
	buffer_load_dwordx4 a[0:3], v34, s[24:27], 0 offen         // 0000000034EC: E05C1000 80860022
	buffer_load_dwordx4 a[4:7], v34, s[24:27], 0 offen offset:1024// 0000000034F4: E05C1400 80860422
	buffer_load_dwordx4 a[8:11], v34, s[24:27], 0 offen offset:2048// 0000000034FC: E05C1800 80860822
	buffer_load_dwordx4 a[12:15], v34, s[24:27], 0 offen offset:3072// 000000003504: E05C1C00 80860C22
	buffer_load_dwordx4 a[16:19], v35, s[24:27], 0 offen       // 00000000350C: E05C1000 80861023
	buffer_load_dwordx4 a[20:23], v35, s[24:27], 0 offen offset:1024// 000000003514: E05C1400 80861423
	buffer_load_dwordx4 a[24:27], v35, s[24:27], 0 offen offset:2048// 00000000351C: E05C1800 80861823
	buffer_load_dwordx4 a[28:31], v35, s[24:27], 0 offen offset:3072// 000000003524: E05C1C00 80861C23
	buffer_load_dwordx4 a[32:35], v36, s[24:27], 0 offen       // 00000000352C: E05C1000 80862024
	buffer_load_dwordx4 a[36:39], v36, s[24:27], 0 offen offset:1024// 000000003534: E05C1400 80862424
	buffer_load_dwordx4 a[40:43], v36, s[24:27], 0 offen offset:2048// 00000000353C: E05C1800 80862824
	buffer_load_dwordx4 a[44:47], v36, s[24:27], 0 offen offset:3072// 000000003544: E05C1C00 80862C24
	buffer_load_dwordx4 a[48:51], v37, s[24:27], 0 offen       // 00000000354C: E05C1000 80863025
	buffer_load_dwordx4 a[52:55], v37, s[24:27], 0 offen offset:1024// 000000003554: E05C1400 80863425
	buffer_load_dwordx4 a[56:59], v37, s[24:27], 0 offen offset:2048// 00000000355C: E05C1800 80863825
	buffer_load_dwordx4 a[60:63], v37, s[24:27], 0 offen offset:3072// 000000003564: E05C1C00 80863C25
	buffer_load_dwordx4 a[64:67], v38, s[24:27], 0 offen       // 00000000356C: E05C1000 80864026
	buffer_load_dwordx4 a[68:71], v38, s[24:27], 0 offen offset:1024// 000000003574: E05C1400 80864426
	buffer_load_dwordx4 a[72:75], v38, s[24:27], 0 offen offset:2048// 00000000357C: E05C1800 80864826
	buffer_load_dwordx4 a[76:79], v38, s[24:27], 0 offen offset:3072// 000000003584: E05C1C00 80864C26
	buffer_load_dwordx4 a[80:83], v39, s[24:27], 0 offen       // 00000000358C: E05C1000 80865027
	buffer_load_dwordx4 a[84:87], v39, s[24:27], 0 offen offset:1024// 000000003594: E05C1400 80865427
	buffer_load_dwordx4 a[88:91], v39, s[24:27], 0 offen offset:2048// 00000000359C: E05C1800 80865827
	buffer_load_dwordx4 a[92:95], v39, s[24:27], 0 offen offset:3072// 0000000035A4: E05C1C00 80865C27
	s_add_u32 s24, s58, s24                                    // 0000000035AC: 8018183A
	s_addc_u32 s25, 0, s25                                     // 0000000035B0: 82191980
	v_mov_b32_e32 v128, 0                                      // 0000000035B4: 7F000280
	v_mov_b32_e32 v64, 0                                       // 0000000035B8: 7E800280
	v_mov_b32_e32 v129, 0                                      // 0000000035BC: 7F020280
	v_mov_b32_e32 v65, 0                                       // 0000000035C0: 7E820280
	v_mov_b32_e32 v130, 0                                      // 0000000035C4: 7F040280
	v_mov_b32_e32 v66, 0                                       // 0000000035C8: 7E840280
	v_mov_b32_e32 v131, 0                                      // 0000000035CC: 7F060280
	v_mov_b32_e32 v67, 0                                       // 0000000035D0: 7E860280
	v_mov_b32_e32 v132, 0                                      // 0000000035D4: 7F080280
	v_mov_b32_e32 v68, 0                                       // 0000000035D8: 7E880280
	v_mov_b32_e32 v133, 0                                      // 0000000035DC: 7F0A0280
	v_mov_b32_e32 v69, 0                                       // 0000000035E0: 7E8A0280
	v_mov_b32_e32 v134, 0                                      // 0000000035E4: 7F0C0280
	v_mov_b32_e32 v70, 0                                       // 0000000035E8: 7E8C0280
	v_mov_b32_e32 v135, 0                                      // 0000000035EC: 7F0E0280
	v_mov_b32_e32 v71, 0                                       // 0000000035F0: 7E8E0280
	v_mov_b32_e32 v136, 0                                      // 0000000035F4: 7F100280
	v_mov_b32_e32 v72, 0                                       // 0000000035F8: 7E900280
	v_mov_b32_e32 v137, 0                                      // 0000000035FC: 7F120280
	v_mov_b32_e32 v73, 0                                       // 000000003600: 7E920280
	v_mov_b32_e32 v138, 0                                      // 000000003604: 7F140280
	v_mov_b32_e32 v74, 0                                       // 000000003608: 7E940280
	v_mov_b32_e32 v139, 0                                      // 00000000360C: 7F160280
	v_mov_b32_e32 v75, 0                                       // 000000003610: 7E960280
	v_mov_b32_e32 v140, 0                                      // 000000003614: 7F180280
	v_mov_b32_e32 v76, 0                                       // 000000003618: 7E980280
	v_mov_b32_e32 v141, 0                                      // 00000000361C: 7F1A0280
	v_mov_b32_e32 v77, 0                                       // 000000003620: 7E9A0280
	v_mov_b32_e32 v142, 0                                      // 000000003624: 7F1C0280
	v_mov_b32_e32 v78, 0                                       // 000000003628: 7E9C0280
	v_mov_b32_e32 v143, 0                                      // 00000000362C: 7F1E0280
	v_mov_b32_e32 v79, 0                                       // 000000003630: 7E9E0280
	v_mov_b32_e32 v144, 0                                      // 000000003634: 7F200280
	v_mov_b32_e32 v80, 0                                       // 000000003638: 7EA00280
	v_mov_b32_e32 v145, 0                                      // 00000000363C: 7F220280
	v_mov_b32_e32 v81, 0                                       // 000000003640: 7EA20280
	v_mov_b32_e32 v146, 0                                      // 000000003644: 7F240280
	v_mov_b32_e32 v82, 0                                       // 000000003648: 7EA40280
	v_mov_b32_e32 v147, 0                                      // 00000000364C: 7F260280
	v_mov_b32_e32 v83, 0                                       // 000000003650: 7EA60280
	v_mov_b32_e32 v148, 0                                      // 000000003654: 7F280280
	v_mov_b32_e32 v84, 0                                       // 000000003658: 7EA80280
	v_mov_b32_e32 v149, 0                                      // 00000000365C: 7F2A0280
	v_mov_b32_e32 v85, 0                                       // 000000003660: 7EAA0280
	v_mov_b32_e32 v150, 0                                      // 000000003664: 7F2C0280
	v_mov_b32_e32 v86, 0                                       // 000000003668: 7EAC0280
	v_mov_b32_e32 v151, 0                                      // 00000000366C: 7F2E0280
	v_mov_b32_e32 v87, 0                                       // 000000003670: 7EAE0280
	v_mov_b32_e32 v152, 0                                      // 000000003674: 7F300280
	v_mov_b32_e32 v88, 0                                       // 000000003678: 7EB00280
	v_mov_b32_e32 v153, 0                                      // 00000000367C: 7F320280
	v_mov_b32_e32 v89, 0                                       // 000000003680: 7EB20280
	v_mov_b32_e32 v154, 0                                      // 000000003684: 7F340280
	v_mov_b32_e32 v90, 0                                       // 000000003688: 7EB40280
	v_mov_b32_e32 v155, 0                                      // 00000000368C: 7F360280
	v_mov_b32_e32 v91, 0                                       // 000000003690: 7EB60280
	v_mov_b32_e32 v156, 0                                      // 000000003694: 7F380280
	v_mov_b32_e32 v92, 0                                       // 000000003698: 7EB80280
	v_mov_b32_e32 v157, 0                                      // 00000000369C: 7F3A0280
	v_mov_b32_e32 v93, 0                                       // 0000000036A0: 7EBA0280
	v_mov_b32_e32 v158, 0                                      // 0000000036A4: 7F3C0280
	v_mov_b32_e32 v94, 0                                       // 0000000036A8: 7EBC0280
	v_mov_b32_e32 v159, 0                                      // 0000000036AC: 7F3E0280
	v_mov_b32_e32 v95, 0                                       // 0000000036B0: 7EBE0280
	v_mov_b32_e32 v160, 0                                      // 0000000036B4: 7F400280
	v_mov_b32_e32 v96, 0                                       // 0000000036B8: 7EC00280
	v_mov_b32_e32 v161, 0                                      // 0000000036BC: 7F420280
	v_mov_b32_e32 v97, 0                                       // 0000000036C0: 7EC20280
	v_mov_b32_e32 v162, 0                                      // 0000000036C4: 7F440280
	v_mov_b32_e32 v98, 0                                       // 0000000036C8: 7EC40280
	v_mov_b32_e32 v163, 0                                      // 0000000036CC: 7F460280
	v_mov_b32_e32 v99, 0                                       // 0000000036D0: 7EC60280
	v_mov_b32_e32 v164, 0                                      // 0000000036D4: 7F480280
	v_mov_b32_e32 v100, 0                                      // 0000000036D8: 7EC80280
	v_mov_b32_e32 v165, 0                                      // 0000000036DC: 7F4A0280
	v_mov_b32_e32 v101, 0                                      // 0000000036E0: 7ECA0280
	v_mov_b32_e32 v166, 0                                      // 0000000036E4: 7F4C0280
	v_mov_b32_e32 v102, 0                                      // 0000000036E8: 7ECC0280
	v_mov_b32_e32 v167, 0                                      // 0000000036EC: 7F4E0280
	v_mov_b32_e32 v103, 0                                      // 0000000036F0: 7ECE0280
	v_mov_b32_e32 v168, 0                                      // 0000000036F4: 7F500280
	v_mov_b32_e32 v104, 0                                      // 0000000036F8: 7ED00280
	v_mov_b32_e32 v169, 0                                      // 0000000036FC: 7F520280
	v_mov_b32_e32 v105, 0                                      // 000000003700: 7ED20280
	v_mov_b32_e32 v170, 0                                      // 000000003704: 7F540280
	v_mov_b32_e32 v106, 0                                      // 000000003708: 7ED40280
	v_mov_b32_e32 v171, 0                                      // 00000000370C: 7F560280
	v_mov_b32_e32 v107, 0                                      // 000000003710: 7ED60280
	v_mov_b32_e32 v172, 0                                      // 000000003714: 7F580280
	v_mov_b32_e32 v108, 0                                      // 000000003718: 7ED80280
	v_mov_b32_e32 v173, 0                                      // 00000000371C: 7F5A0280
	v_mov_b32_e32 v109, 0                                      // 000000003720: 7EDA0280
	v_mov_b32_e32 v174, 0                                      // 000000003724: 7F5C0280
	v_mov_b32_e32 v110, 0                                      // 000000003728: 7EDC0280
	v_mov_b32_e32 v175, 0                                      // 00000000372C: 7F5E0280
	v_mov_b32_e32 v111, 0                                      // 000000003730: 7EDE0280
	v_lshrrev_b32_e32 v50, 4, v0                               // 000000003734: 20640084
	v_mul_i32_i24_e32 v3, 34, v50                              // 000000003738: 0C0664A2
	v_and_b32_e32 v50, 15, v0                                  // 00000000373C: 2664008F
	v_mul_i32_i24_e32 v51, 2, v50                              // 000000003740: 0C666482
	v_add_u32_e32 v3, v51, v3                                  // 000000003744: 68060733
	s_mul_i32 s60, s7, 0x88                                    // 000000003748: 923CFF07 00000088
	v_add_u32_e32 v3, s60, v3                                  // 000000003750: 6806063C
	v_lshlrev_b32_e32 v3, 2, v3                                // 000000003754: 24060682
	v_lshrrev_b32_e32 v50, 1, v0                               // 000000003758: 20640081
	v_mul_i32_i24_e32 v4, 34, v50                              // 00000000375C: 0C0864A2
	v_and_b32_e32 v51, 1, v0                                   // 000000003760: 26660081
	v_add_u32_e32 v4, v51, v4                                  // 000000003764: 68080933
	s_mul_i32 s60, s7, 2                                       // 000000003768: 923C8207
	v_add_u32_e32 v4, s60, v4                                  // 00000000376C: 6808083C
	v_lshlrev_b32_e32 v4, 2, v4                                // 000000003770: 24080882
	s_waitcnt vmcnt(24)                                        // 000000003774: BF8C4F78
	s_barrier                                                  // 000000003778: BF8A0000
	ds_read_b128 v[176:179], v2                                // 00000000377C: D9FE0000 B0000002
	ds_read_b128 v[180:183], v2 offset:64                      // 000000003784: D9FE0040 B4000002
	ds_read_b128 v[184:187], v2 offset:128                     // 00000000378C: D9FE0080 B8000002
	ds_read_b128 v[188:191], v2 offset:192                     // 000000003794: D9FE00C0 BC000002
	ds_read_b128 v[192:195], v2 offset:1024                    // 00000000379C: D9FE0400 C0000002
	ds_read_b128 v[196:199], v2 offset:1088                    // 0000000037A4: D9FE0440 C4000002
	ds_read_b128 v[200:203], v2 offset:1152                    // 0000000037AC: D9FE0480 C8000002
	ds_read_b128 v[204:207], v2 offset:1216                    // 0000000037B4: D9FE04C0 CC000002
	s_cmp_lt_i32 s7, 2                                         // 0000000037BC: BF048207
	s_cbranch_scc0 label_11F2                                  // 0000000037C0: BF840F81

00000000000037c4 <label_0271>:
	s_waitcnt vmcnt(16) lgkmcnt(0)                             // 0000000037C4: BF8C4070
	s_barrier                                                  // 0000000037C8: BF8A0000
	v_mfma_f32_16x16x32_fp8_fp8 v[128:131], a[0:1], v[176:177], v[128:131]// 0000000037CC: D3F30080 0E036100
	v_mfma_f32_16x16x32_fp8_fp8 v[128:131], a[2:3], v[178:179], v[128:131]// 0000000037D4: D3F30080 0E036502
	buffer_load_dwordx4 a[96:99], v34, s[92:95], 0 offen       // 0000000037DC: E05C1000 80976022
	v_mfma_f32_16x16x32_fp8_fp8 v[128:131], a[4:5], v[180:181], v[128:131]// 0000000037E4: D3F30080 0E036904
	v_mfma_f32_16x16x32_fp8_fp8 v[128:131], a[6:7], v[182:183], v[128:131]// 0000000037EC: D3F30080 0E036D06
	buffer_load_dword v26, s[20:23], 0 offen lds               // 0000000037F4: E0511000 8005001A
	s_add_u32 m0, 0x100, s51                                   // 0000000037FC: 807C33FF 00000100
	v_mfma_f32_16x16x32_fp8_fp8 v[128:131], a[8:9], v[184:185], v[128:131]// 000000003804: D3F30080 0E037108
	v_mfma_f32_16x16x32_fp8_fp8 v[128:131], a[10:11], v[186:187], v[128:131]// 00000000380C: D3F30080 0E03750A
	buffer_load_dwordx4 a[100:103], v34, s[92:95], 0 offen offset:1024// 000000003814: E05C1400 80976422
	v_mfma_f32_16x16x32_fp8_fp8 v[128:131], a[12:13], v[188:189], v[128:131]// 00000000381C: D3F30080 0E03790C
	v_mfma_f32_16x16x32_fp8_fp8 v[128:131], a[14:15], v[190:191], v[128:131]// 000000003824: D3F30080 0E037D0E
	buffer_load_dword v27, s[20:23], 0 offen lds               // 00000000382C: E0511000 8005001B
	s_add_u32 m0, 0x200, s51                                   // 000000003834: 807C33FF 00000200
	v_mfma_f32_16x16x32_fp8_fp8 v[132:135], a[0:1], v[192:193], v[132:135]// 00000000383C: D3F30084 0E138100
	v_mfma_f32_16x16x32_fp8_fp8 v[132:135], a[2:3], v[194:195], v[132:135]// 000000003844: D3F30084 0E138502
	buffer_load_dwordx4 a[104:107], v34, s[92:95], 0 offen offset:2048// 00000000384C: E05C1800 80976822
	v_mfma_f32_16x16x32_fp8_fp8 v[132:135], a[4:5], v[196:197], v[132:135]// 000000003854: D3F30084 0E138904
	v_mfma_f32_16x16x32_fp8_fp8 v[132:135], a[6:7], v[198:199], v[132:135]// 00000000385C: D3F30084 0E138D06
	buffer_load_dword v28, s[20:23], 0 offen lds               // 000000003864: E0511000 8005001C
	s_add_u32 m0, 0x300, s51                                   // 00000000386C: 807C33FF 00000300
	v_mfma_f32_16x16x32_fp8_fp8 v[132:135], a[8:9], v[200:201], v[132:135]// 000000003874: D3F30084 0E139108
	v_mfma_f32_16x16x32_fp8_fp8 v[132:135], a[10:11], v[202:203], v[132:135]// 00000000387C: D3F30084 0E13950A
	buffer_load_dwordx4 a[108:111], v34, s[92:95], 0 offen offset:3072// 000000003884: E05C1C00 80976C22
	v_mfma_f32_16x16x32_fp8_fp8 v[132:135], a[12:13], v[204:205], v[132:135]// 00000000388C: D3F30084 0E13990C
	v_mfma_f32_16x16x32_fp8_fp8 v[132:135], a[14:15], v[206:207], v[132:135]// 000000003894: D3F30084 0E139D0E
	buffer_load_dword v29, s[20:23], 0 offen lds               // 00000000389C: E0511000 8005001D
	s_add_u32 m0, 0x400, s51                                   // 0000000038A4: 807C33FF 00000400
	v_mfma_f32_16x16x32_fp8_fp8 v[136:139], a[16:17], v[176:177], v[136:139]// 0000000038AC: D3F30088 0E236110
	v_mfma_f32_16x16x32_fp8_fp8 v[136:139], a[18:19], v[178:179], v[136:139]// 0000000038B4: D3F30088 0E236512
	buffer_load_dwordx4 a[112:115], v35, s[92:95], 0 offen     // 0000000038BC: E05C1000 80977023
	v_mfma_f32_16x16x32_fp8_fp8 v[136:139], a[20:21], v[180:181], v[136:139]// 0000000038C4: D3F30088 0E236914
	v_mfma_f32_16x16x32_fp8_fp8 v[136:139], a[22:23], v[182:183], v[136:139]// 0000000038CC: D3F30088 0E236D16
	buffer_load_dword v30, s[20:23], 0 offen lds               // 0000000038D4: E0511000 8005001E
	s_add_u32 m0, 0x500, s51                                   // 0000000038DC: 807C33FF 00000500
	v_mfma_f32_16x16x32_fp8_fp8 v[136:139], a[24:25], v[184:185], v[136:139]// 0000000038E4: D3F30088 0E237118
	v_mfma_f32_16x16x32_fp8_fp8 v[136:139], a[26:27], v[186:187], v[136:139]// 0000000038EC: D3F30088 0E23751A
	buffer_load_dwordx4 a[116:119], v35, s[92:95], 0 offen offset:1024// 0000000038F4: E05C1400 80977423
	v_mfma_f32_16x16x32_fp8_fp8 v[136:139], a[28:29], v[188:189], v[136:139]// 0000000038FC: D3F30088 0E23791C
	v_mfma_f32_16x16x32_fp8_fp8 v[136:139], a[30:31], v[190:191], v[136:139]// 000000003904: D3F30088 0E237D1E
	buffer_load_dword v31, s[20:23], 0 offen lds               // 00000000390C: E0511000 8005001F
	s_add_u32 m0, 0x600, s51                                   // 000000003914: 807C33FF 00000600
	v_mfma_f32_16x16x32_fp8_fp8 v[140:143], a[16:17], v[192:193], v[140:143]// 00000000391C: D3F3008C 0E338110
	v_mfma_f32_16x16x32_fp8_fp8 v[140:143], a[18:19], v[194:195], v[140:143]// 000000003924: D3F3008C 0E338512
	buffer_load_dwordx4 a[120:123], v35, s[92:95], 0 offen offset:2048// 00000000392C: E05C1800 80977823
	v_mfma_f32_16x16x32_fp8_fp8 v[140:143], a[20:21], v[196:197], v[140:143]// 000000003934: D3F3008C 0E338914
	v_mfma_f32_16x16x32_fp8_fp8 v[140:143], a[22:23], v[198:199], v[140:143]// 00000000393C: D3F3008C 0E338D16
	buffer_load_dword v32, s[20:23], 0 offen lds               // 000000003944: E0511000 80050020
	s_add_u32 m0, 0x700, s51                                   // 00000000394C: 807C33FF 00000700
	v_mfma_f32_16x16x32_fp8_fp8 v[140:143], a[24:25], v[200:201], v[140:143]// 000000003954: D3F3008C 0E339118
	v_mfma_f32_16x16x32_fp8_fp8 v[140:143], a[26:27], v[202:203], v[140:143]// 00000000395C: D3F3008C 0E33951A
	buffer_load_dwordx4 a[124:127], v35, s[92:95], 0 offen offset:3072// 000000003964: E05C1C00 80977C23
	v_mfma_f32_16x16x32_fp8_fp8 v[140:143], a[28:29], v[204:205], v[140:143]// 00000000396C: D3F3008C 0E33991C
	v_mfma_f32_16x16x32_fp8_fp8 v[140:143], a[30:31], v[206:207], v[140:143]// 000000003974: D3F3008C 0E339D1E
	buffer_load_dword v33, s[20:23], 0 offen lds               // 00000000397C: E0511000 80050021
	s_add_u32 m0, 0, s50                                       // 000000003984: 807C3280
	s_waitcnt vmcnt(28)                                        // 000000003988: BF8C4F7C
	v_mfma_f32_16x16x32_fp8_fp8 v[144:147], a[32:33], v[176:177], v[144:147]// 00000000398C: D3F30090 0E436120
	v_mfma_f32_16x16x32_fp8_fp8 v[144:147], a[34:35], v[178:179], v[144:147]// 000000003994: D3F30090 0E436522
	buffer_load_dwordx4 a[128:131], v36, s[92:95], 0 offen     // 00000000399C: E05C1000 80978024
	v_mfma_f32_16x16x32_fp8_fp8 v[144:147], a[36:37], v[180:181], v[144:147]// 0000000039A4: D3F30090 0E436924
	v_mfma_f32_16x16x32_fp8_fp8 v[144:147], a[38:39], v[182:183], v[144:147]// 0000000039AC: D3F30090 0E436D26
	v_mfma_f32_16x16x32_fp8_fp8 v[144:147], a[40:41], v[184:185], v[144:147]// 0000000039B4: D3F30090 0E437128
	v_mfma_f32_16x16x32_fp8_fp8 v[144:147], a[42:43], v[186:187], v[144:147]// 0000000039BC: D3F30090 0E43752A
	buffer_load_dwordx4 a[132:135], v36, s[92:95], 0 offen offset:1024// 0000000039C4: E05C1400 80978424
	v_mfma_f32_16x16x32_fp8_fp8 v[144:147], a[44:45], v[188:189], v[144:147]// 0000000039CC: D3F30090 0E43792C
	v_mfma_f32_16x16x32_fp8_fp8 v[144:147], a[46:47], v[190:191], v[144:147]// 0000000039D4: D3F30090 0E437D2E
	v_mfma_f32_16x16x32_fp8_fp8 v[148:151], a[32:33], v[192:193], v[148:151]// 0000000039DC: D3F30094 0E538120
	v_mfma_f32_16x16x32_fp8_fp8 v[148:151], a[34:35], v[194:195], v[148:151]// 0000000039E4: D3F30094 0E538522
	buffer_load_dwordx4 a[136:139], v36, s[92:95], 0 offen offset:2048// 0000000039EC: E05C1800 80978824
	v_mfma_f32_16x16x32_fp8_fp8 v[148:151], a[36:37], v[196:197], v[148:151]// 0000000039F4: D3F30094 0E538924
	v_mfma_f32_16x16x32_fp8_fp8 v[148:151], a[38:39], v[198:199], v[148:151]// 0000000039FC: D3F30094 0E538D26
	v_mfma_f32_16x16x32_fp8_fp8 v[148:151], a[40:41], v[200:201], v[148:151]// 000000003A04: D3F30094 0E539128
	v_mfma_f32_16x16x32_fp8_fp8 v[148:151], a[42:43], v[202:203], v[148:151]// 000000003A0C: D3F30094 0E53952A
	buffer_load_dwordx4 a[140:143], v36, s[92:95], 0 offen offset:3072// 000000003A14: E05C1C00 80978C24
	v_mfma_f32_16x16x32_fp8_fp8 v[148:151], a[44:45], v[204:205], v[148:151]// 000000003A1C: D3F30094 0E53992C
	v_mfma_f32_16x16x32_fp8_fp8 v[148:151], a[46:47], v[206:207], v[148:151]// 000000003A24: D3F30094 0E539D2E
	s_waitcnt vmcnt(28)                                        // 000000003A2C: BF8C4F7C
	v_mfma_f32_16x16x32_fp8_fp8 v[152:155], a[48:49], v[176:177], v[152:155]// 000000003A30: D3F30098 0E636130
	v_mfma_f32_16x16x32_fp8_fp8 v[152:155], a[50:51], v[178:179], v[152:155]// 000000003A38: D3F30098 0E636532
	buffer_load_dwordx4 a[144:147], v37, s[92:95], 0 offen     // 000000003A40: E05C1000 80979025
	v_mfma_f32_16x16x32_fp8_fp8 v[152:155], a[52:53], v[180:181], v[152:155]// 000000003A48: D3F30098 0E636934
	v_mfma_f32_16x16x32_fp8_fp8 v[152:155], a[54:55], v[182:183], v[152:155]// 000000003A50: D3F30098 0E636D36
	v_mfma_f32_16x16x32_fp8_fp8 v[152:155], a[56:57], v[184:185], v[152:155]// 000000003A58: D3F30098 0E637138
	v_mfma_f32_16x16x32_fp8_fp8 v[152:155], a[58:59], v[186:187], v[152:155]// 000000003A60: D3F30098 0E63753A
	buffer_load_dwordx4 a[148:151], v37, s[92:95], 0 offen offset:1024// 000000003A68: E05C1400 80979425
	v_mfma_f32_16x16x32_fp8_fp8 v[152:155], a[60:61], v[188:189], v[152:155]// 000000003A70: D3F30098 0E63793C
	v_mfma_f32_16x16x32_fp8_fp8 v[152:155], a[62:63], v[190:191], v[152:155]// 000000003A78: D3F30098 0E637D3E
	v_mfma_f32_16x16x32_fp8_fp8 v[156:159], a[48:49], v[192:193], v[156:159]// 000000003A80: D3F3009C 0E738130
	v_mfma_f32_16x16x32_fp8_fp8 v[156:159], a[50:51], v[194:195], v[156:159]// 000000003A88: D3F3009C 0E738532
	buffer_load_dwordx4 a[152:155], v37, s[92:95], 0 offen offset:2048// 000000003A90: E05C1800 80979825
	v_mfma_f32_16x16x32_fp8_fp8 v[156:159], a[52:53], v[196:197], v[156:159]// 000000003A98: D3F3009C 0E738934
	v_mfma_f32_16x16x32_fp8_fp8 v[156:159], a[54:55], v[198:199], v[156:159]// 000000003AA0: D3F3009C 0E738D36
	v_mfma_f32_16x16x32_fp8_fp8 v[156:159], a[56:57], v[200:201], v[156:159]// 000000003AA8: D3F3009C 0E739138
	v_mfma_f32_16x16x32_fp8_fp8 v[156:159], a[58:59], v[202:203], v[156:159]// 000000003AB0: D3F3009C 0E73953A
	buffer_load_dwordx4 a[156:159], v37, s[92:95], 0 offen offset:3072// 000000003AB8: E05C1C00 80979C25
	v_mfma_f32_16x16x32_fp8_fp8 v[156:159], a[60:61], v[204:205], v[156:159]// 000000003AC0: D3F3009C 0E73993C
	v_mfma_f32_16x16x32_fp8_fp8 v[156:159], a[62:63], v[206:207], v[156:159]// 000000003AC8: D3F3009C 0E739D3E
	s_waitcnt vmcnt(28)                                        // 000000003AD0: BF8C4F7C
	v_mfma_f32_16x16x32_fp8_fp8 v[160:163], a[64:65], v[176:177], v[160:163]// 000000003AD4: D3F300A0 0E836140
	v_mfma_f32_16x16x32_fp8_fp8 v[160:163], a[66:67], v[178:179], v[160:163]// 000000003ADC: D3F300A0 0E836542
	buffer_load_dwordx4 a[160:163], v38, s[92:95], 0 offen     // 000000003AE4: E05C1000 8097A026
	v_mfma_f32_16x16x32_fp8_fp8 v[160:163], a[68:69], v[180:181], v[160:163]// 000000003AEC: D3F300A0 0E836944
	v_mfma_f32_16x16x32_fp8_fp8 v[160:163], a[70:71], v[182:183], v[160:163]// 000000003AF4: D3F300A0 0E836D46
	v_mfma_f32_16x16x32_fp8_fp8 v[160:163], a[72:73], v[184:185], v[160:163]// 000000003AFC: D3F300A0 0E837148
	v_mfma_f32_16x16x32_fp8_fp8 v[160:163], a[74:75], v[186:187], v[160:163]// 000000003B04: D3F300A0 0E83754A
	buffer_load_dwordx4 a[164:167], v38, s[92:95], 0 offen offset:1024// 000000003B0C: E05C1400 8097A426
	v_mfma_f32_16x16x32_fp8_fp8 v[160:163], a[76:77], v[188:189], v[160:163]// 000000003B14: D3F300A0 0E83794C
	v_mfma_f32_16x16x32_fp8_fp8 v[160:163], a[78:79], v[190:191], v[160:163]// 000000003B1C: D3F300A0 0E837D4E
	v_mfma_f32_16x16x32_fp8_fp8 v[164:167], a[64:65], v[192:193], v[164:167]// 000000003B24: D3F300A4 0E938140
	v_mfma_f32_16x16x32_fp8_fp8 v[164:167], a[66:67], v[194:195], v[164:167]// 000000003B2C: D3F300A4 0E938542
	buffer_load_dwordx4 a[168:171], v38, s[92:95], 0 offen offset:2048// 000000003B34: E05C1800 8097A826
	v_mfma_f32_16x16x32_fp8_fp8 v[164:167], a[68:69], v[196:197], v[164:167]// 000000003B3C: D3F300A4 0E938944
	v_mfma_f32_16x16x32_fp8_fp8 v[164:167], a[70:71], v[198:199], v[164:167]// 000000003B44: D3F300A4 0E938D46
	v_mfma_f32_16x16x32_fp8_fp8 v[164:167], a[72:73], v[200:201], v[164:167]// 000000003B4C: D3F300A4 0E939148
	v_mfma_f32_16x16x32_fp8_fp8 v[164:167], a[74:75], v[202:203], v[164:167]// 000000003B54: D3F300A4 0E93954A
	buffer_load_dwordx4 a[172:175], v38, s[92:95], 0 offen offset:3072// 000000003B5C: E05C1C00 8097AC26
	v_mfma_f32_16x16x32_fp8_fp8 v[164:167], a[76:77], v[204:205], v[164:167]// 000000003B64: D3F300A4 0E93994C
	v_mfma_f32_16x16x32_fp8_fp8 v[164:167], a[78:79], v[206:207], v[164:167]// 000000003B6C: D3F300A4 0E939D4E
	s_waitcnt vmcnt(28)                                        // 000000003B74: BF8C4F7C
	v_mfma_f32_16x16x32_fp8_fp8 v[168:171], a[80:81], v[176:177], v[168:171]// 000000003B78: D3F300A8 0EA36150
	v_mfma_f32_16x16x32_fp8_fp8 v[168:171], a[82:83], v[178:179], v[168:171]// 000000003B80: D3F300A8 0EA36552
	buffer_load_dwordx4 a[176:179], v39, s[92:95], 0 offen     // 000000003B88: E05C1000 8097B027
	v_mfma_f32_16x16x32_fp8_fp8 v[168:171], a[84:85], v[180:181], v[168:171]// 000000003B90: D3F300A8 0EA36954
	v_mfma_f32_16x16x32_fp8_fp8 v[168:171], a[86:87], v[182:183], v[168:171]// 000000003B98: D3F300A8 0EA36D56
	v_mfma_f32_16x16x32_fp8_fp8 v[168:171], a[88:89], v[184:185], v[168:171]// 000000003BA0: D3F300A8 0EA37158
	v_mfma_f32_16x16x32_fp8_fp8 v[168:171], a[90:91], v[186:187], v[168:171]// 000000003BA8: D3F300A8 0EA3755A
	buffer_load_dwordx4 a[180:183], v39, s[92:95], 0 offen offset:1024// 000000003BB0: E05C1400 8097B427
	v_mfma_f32_16x16x32_fp8_fp8 v[168:171], a[92:93], v[188:189], v[168:171]// 000000003BB8: D3F300A8 0EA3795C
	v_mfma_f32_16x16x32_fp8_fp8 v[168:171], a[94:95], v[190:191], v[168:171]// 000000003BC0: D3F300A8 0EA37D5E
	v_mfma_f32_16x16x32_fp8_fp8 v[172:175], a[80:81], v[192:193], v[172:175]// 000000003BC8: D3F300AC 0EB38150
	v_mfma_f32_16x16x32_fp8_fp8 v[172:175], a[82:83], v[194:195], v[172:175]// 000000003BD0: D3F300AC 0EB38552
	buffer_load_dwordx4 a[184:187], v39, s[92:95], 0 offen offset:2048// 000000003BD8: E05C1800 8097B827
	v_mfma_f32_16x16x32_fp8_fp8 v[172:175], a[84:85], v[196:197], v[172:175]// 000000003BE0: D3F300AC 0EB38954
	v_mfma_f32_16x16x32_fp8_fp8 v[172:175], a[86:87], v[198:199], v[172:175]// 000000003BE8: D3F300AC 0EB38D56
	v_mfma_f32_16x16x32_fp8_fp8 v[172:175], a[88:89], v[200:201], v[172:175]// 000000003BF0: D3F300AC 0EB39158
	v_mfma_f32_16x16x32_fp8_fp8 v[172:175], a[90:91], v[202:203], v[172:175]// 000000003BF8: D3F300AC 0EB3955A
	buffer_load_dwordx4 a[188:191], v39, s[92:95], 0 offen offset:3072// 000000003C00: E05C1C00 8097BC27
	v_mfma_f32_16x16x32_fp8_fp8 v[172:175], a[92:93], v[204:205], v[172:175]// 000000003C08: D3F300AC 0EB3995C
	v_mfma_f32_16x16x32_fp8_fp8 v[172:175], a[94:95], v[206:207], v[172:175]// 000000003C10: D3F300AC 0EB39D5E
	s_waitcnt vmcnt(16)                                        // 000000003C18: BF8C4F70
	s_barrier                                                  // 000000003C1C: BF8A0000
	v_mfma_f32_16x16x32_fp8_fp8 v[64:67], a[96:97], v[176:177], v[64:67]// 000000003C20: D3F30040 0D036160
	v_mfma_f32_16x16x32_fp8_fp8 v[64:67], a[98:99], v[178:179], v[64:67]// 000000003C28: D3F30040 0D036562
	buffer_load_dwordx4 a[0:3], v34, s[24:27], 0 offen         // 000000003C30: E05C1000 80860022
	v_mfma_f32_16x16x32_fp8_fp8 v[64:67], a[100:101], v[180:181], v[64:67]// 000000003C38: D3F30040 0D036964
	v_mfma_f32_16x16x32_fp8_fp8 v[64:67], a[102:103], v[182:183], v[64:67]// 000000003C40: D3F30040 0D036D66
	v_mfma_f32_16x16x32_fp8_fp8 v[64:67], a[104:105], v[184:185], v[64:67]// 000000003C48: D3F30040 0D037168
	v_mfma_f32_16x16x32_fp8_fp8 v[64:67], a[106:107], v[186:187], v[64:67]// 000000003C50: D3F30040 0D03756A
	buffer_load_dwordx4 a[4:7], v34, s[24:27], 0 offen offset:1024// 000000003C58: E05C1400 80860422
	v_mfma_f32_16x16x32_fp8_fp8 v[64:67], a[108:109], v[188:189], v[64:67]// 000000003C60: D3F30040 0D03796C
	v_mfma_f32_16x16x32_fp8_fp8 v[64:67], a[110:111], v[190:191], v[64:67]// 000000003C68: D3F30040 0D037D6E
	v_mfma_f32_16x16x32_fp8_fp8 v[68:71], a[96:97], v[192:193], v[68:71]// 000000003C70: D3F30044 0D138160
	v_mfma_f32_16x16x32_fp8_fp8 v[68:71], a[98:99], v[194:195], v[68:71]// 000000003C78: D3F30044 0D138562
	buffer_load_dwordx4 a[8:11], v34, s[24:27], 0 offen offset:2048// 000000003C80: E05C1800 80860822
	v_mfma_f32_16x16x32_fp8_fp8 v[68:71], a[100:101], v[196:197], v[68:71]// 000000003C88: D3F30044 0D138964
	v_mfma_f32_16x16x32_fp8_fp8 v[68:71], a[102:103], v[198:199], v[68:71]// 000000003C90: D3F30044 0D138D66
	v_mfma_f32_16x16x32_fp8_fp8 v[68:71], a[104:105], v[200:201], v[68:71]// 000000003C98: D3F30044 0D139168
	v_mfma_f32_16x16x32_fp8_fp8 v[68:71], a[106:107], v[202:203], v[68:71]// 000000003CA0: D3F30044 0D13956A
	buffer_load_dwordx4 a[12:15], v34, s[24:27], 0 offen offset:3072// 000000003CA8: E05C1C00 80860C22
	v_mfma_f32_16x16x32_fp8_fp8 v[68:71], a[108:109], v[204:205], v[68:71]// 000000003CB0: D3F30044 0D13996C
	v_mfma_f32_16x16x32_fp8_fp8 v[68:71], a[110:111], v[206:207], v[68:71]// 000000003CB8: D3F30044 0D139D6E
	v_mfma_f32_16x16x32_fp8_fp8 v[72:75], a[112:113], v[176:177], v[72:75]// 000000003CC0: D3F30048 0D236170
	v_mfma_f32_16x16x32_fp8_fp8 v[72:75], a[114:115], v[178:179], v[72:75]// 000000003CC8: D3F30048 0D236572
	buffer_load_dwordx4 a[16:19], v35, s[24:27], 0 offen       // 000000003CD0: E05C1000 80861023
	v_mfma_f32_16x16x32_fp8_fp8 v[72:75], a[116:117], v[180:181], v[72:75]// 000000003CD8: D3F30048 0D236974
	v_mfma_f32_16x16x32_fp8_fp8 v[72:75], a[118:119], v[182:183], v[72:75]// 000000003CE0: D3F30048 0D236D76
	v_mfma_f32_16x16x32_fp8_fp8 v[72:75], a[120:121], v[184:185], v[72:75]// 000000003CE8: D3F30048 0D237178
	v_mfma_f32_16x16x32_fp8_fp8 v[72:75], a[122:123], v[186:187], v[72:75]// 000000003CF0: D3F30048 0D23757A
	buffer_load_dwordx4 a[20:23], v35, s[24:27], 0 offen offset:1024// 000000003CF8: E05C1400 80861423
	v_mfma_f32_16x16x32_fp8_fp8 v[72:75], a[124:125], v[188:189], v[72:75]// 000000003D00: D3F30048 0D23797C
	v_mfma_f32_16x16x32_fp8_fp8 v[72:75], a[126:127], v[190:191], v[72:75]// 000000003D08: D3F30048 0D237D7E
	v_mfma_f32_16x16x32_fp8_fp8 v[76:79], a[112:113], v[192:193], v[76:79]// 000000003D10: D3F3004C 0D338170
	v_mfma_f32_16x16x32_fp8_fp8 v[76:79], a[114:115], v[194:195], v[76:79]// 000000003D18: D3F3004C 0D338572
	buffer_load_dwordx4 a[24:27], v35, s[24:27], 0 offen offset:2048// 000000003D20: E05C1800 80861823
	v_mfma_f32_16x16x32_fp8_fp8 v[76:79], a[116:117], v[196:197], v[76:79]// 000000003D28: D3F3004C 0D338974
	v_mfma_f32_16x16x32_fp8_fp8 v[76:79], a[118:119], v[198:199], v[76:79]// 000000003D30: D3F3004C 0D338D76
	v_mfma_f32_16x16x32_fp8_fp8 v[76:79], a[120:121], v[200:201], v[76:79]// 000000003D38: D3F3004C 0D339178
	v_mfma_f32_16x16x32_fp8_fp8 v[76:79], a[122:123], v[202:203], v[76:79]// 000000003D40: D3F3004C 0D33957A
	buffer_load_dwordx4 a[28:31], v35, s[24:27], 0 offen offset:3072// 000000003D48: E05C1C00 80861C23
	v_mfma_f32_16x16x32_fp8_fp8 v[76:79], a[124:125], v[204:205], v[76:79]// 000000003D50: D3F3004C 0D33997C
	v_mfma_f32_16x16x32_fp8_fp8 v[76:79], a[126:127], v[206:207], v[76:79]// 000000003D58: D3F3004C 0D339D7E
	s_waitcnt vmcnt(20)                                        // 000000003D60: BF8C4F74
	v_mfma_f32_16x16x32_fp8_fp8 v[80:83], a[128:129], v[176:177], v[80:83]// 000000003D64: D3F30050 0D436180
	v_mfma_f32_16x16x32_fp8_fp8 v[80:83], a[130:131], v[178:179], v[80:83]// 000000003D6C: D3F30050 0D436582
	buffer_load_dwordx4 a[32:35], v36, s[24:27], 0 offen       // 000000003D74: E05C1000 80862024
	v_mfma_f32_16x16x32_fp8_fp8 v[80:83], a[132:133], v[180:181], v[80:83]// 000000003D7C: D3F30050 0D436984
	v_mfma_f32_16x16x32_fp8_fp8 v[80:83], a[134:135], v[182:183], v[80:83]// 000000003D84: D3F30050 0D436D86
	ds_read_b128 v[208:211], v2 offset:8320                    // 000000003D8C: D9FE2080 D0000002
	v_mfma_f32_16x16x32_fp8_fp8 v[80:83], a[136:137], v[184:185], v[80:83]// 000000003D94: D3F30050 0D437188
	v_mfma_f32_16x16x32_fp8_fp8 v[80:83], a[138:139], v[186:187], v[80:83]// 000000003D9C: D3F30050 0D43758A
	buffer_load_dwordx4 a[36:39], v36, s[24:27], 0 offen offset:1024// 000000003DA4: E05C1400 80862424
	v_mfma_f32_16x16x32_fp8_fp8 v[80:83], a[140:141], v[188:189], v[80:83]// 000000003DAC: D3F30050 0D43798C
	v_mfma_f32_16x16x32_fp8_fp8 v[80:83], a[142:143], v[190:191], v[80:83]// 000000003DB4: D3F30050 0D437D8E
	ds_read_b128 v[212:215], v2 offset:8384                    // 000000003DBC: D9FE20C0 D4000002
	v_mfma_f32_16x16x32_fp8_fp8 v[84:87], a[128:129], v[192:193], v[84:87]// 000000003DC4: D3F30054 0D538180
	v_mfma_f32_16x16x32_fp8_fp8 v[84:87], a[130:131], v[194:195], v[84:87]// 000000003DCC: D3F30054 0D538582
	buffer_load_dwordx4 a[40:43], v36, s[24:27], 0 offen offset:2048// 000000003DD4: E05C1800 80862824
	v_mfma_f32_16x16x32_fp8_fp8 v[84:87], a[132:133], v[196:197], v[84:87]// 000000003DDC: D3F30054 0D538984
	v_mfma_f32_16x16x32_fp8_fp8 v[84:87], a[134:135], v[198:199], v[84:87]// 000000003DE4: D3F30054 0D538D86
	ds_read_b128 v[216:219], v2 offset:8448                    // 000000003DEC: D9FE2100 D8000002
	v_mfma_f32_16x16x32_fp8_fp8 v[84:87], a[136:137], v[200:201], v[84:87]// 000000003DF4: D3F30054 0D539188
	v_mfma_f32_16x16x32_fp8_fp8 v[84:87], a[138:139], v[202:203], v[84:87]// 000000003DFC: D3F30054 0D53958A
	buffer_load_dwordx4 a[44:47], v36, s[24:27], 0 offen offset:3072// 000000003E04: E05C1C00 80862C24
	v_mfma_f32_16x16x32_fp8_fp8 v[84:87], a[140:141], v[204:205], v[84:87]// 000000003E0C: D3F30054 0D53998C
	v_mfma_f32_16x16x32_fp8_fp8 v[84:87], a[142:143], v[206:207], v[84:87]// 000000003E14: D3F30054 0D539D8E
	ds_read_b128 v[220:223], v2 offset:8512                    // 000000003E1C: D9FE2140 DC000002
	s_waitcnt vmcnt(20)                                        // 000000003E24: BF8C4F74
	v_mfma_f32_16x16x32_fp8_fp8 v[88:91], a[144:145], v[176:177], v[88:91]// 000000003E28: D3F30058 0D636190
	v_mfma_f32_16x16x32_fp8_fp8 v[88:91], a[146:147], v[178:179], v[88:91]// 000000003E30: D3F30058 0D636592
	buffer_load_dwordx4 a[48:51], v37, s[24:27], 0 offen       // 000000003E38: E05C1000 80863025
	v_mfma_f32_16x16x32_fp8_fp8 v[88:91], a[148:149], v[180:181], v[88:91]// 000000003E40: D3F30058 0D636994
	v_mfma_f32_16x16x32_fp8_fp8 v[88:91], a[150:151], v[182:183], v[88:91]// 000000003E48: D3F30058 0D636D96
	ds_read_b128 v[224:227], v2 offset:9344                    // 000000003E50: D9FE2480 E0000002
	v_mfma_f32_16x16x32_fp8_fp8 v[88:91], a[152:153], v[184:185], v[88:91]// 000000003E58: D3F30058 0D637198
	v_mfma_f32_16x16x32_fp8_fp8 v[88:91], a[154:155], v[186:187], v[88:91]// 000000003E60: D3F30058 0D63759A
	buffer_load_dwordx4 a[52:55], v37, s[24:27], 0 offen offset:1024// 000000003E68: E05C1400 80863425
	v_mfma_f32_16x16x32_fp8_fp8 v[88:91], a[156:157], v[188:189], v[88:91]// 000000003E70: D3F30058 0D63799C
	v_mfma_f32_16x16x32_fp8_fp8 v[88:91], a[158:159], v[190:191], v[88:91]// 000000003E78: D3F30058 0D637D9E
	ds_read_b128 v[228:231], v2 offset:9408                    // 000000003E80: D9FE24C0 E4000002
	v_mfma_f32_16x16x32_fp8_fp8 v[92:95], a[144:145], v[192:193], v[92:95]// 000000003E88: D3F3005C 0D738190
	v_mfma_f32_16x16x32_fp8_fp8 v[92:95], a[146:147], v[194:195], v[92:95]// 000000003E90: D3F3005C 0D738592
	buffer_load_dwordx4 a[56:59], v37, s[24:27], 0 offen offset:2048// 000000003E98: E05C1800 80863825
	v_mfma_f32_16x16x32_fp8_fp8 v[92:95], a[148:149], v[196:197], v[92:95]// 000000003EA0: D3F3005C 0D738994
	v_mfma_f32_16x16x32_fp8_fp8 v[92:95], a[150:151], v[198:199], v[92:95]// 000000003EA8: D3F3005C 0D738D96
	ds_read_b128 v[232:235], v2 offset:9472                    // 000000003EB0: D9FE2500 E8000002
	v_mfma_f32_16x16x32_fp8_fp8 v[92:95], a[152:153], v[200:201], v[92:95]// 000000003EB8: D3F3005C 0D739198
	v_mfma_f32_16x16x32_fp8_fp8 v[92:95], a[154:155], v[202:203], v[92:95]// 000000003EC0: D3F3005C 0D73959A
	buffer_load_dwordx4 a[60:63], v37, s[24:27], 0 offen offset:3072// 000000003EC8: E05C1C00 80863C25
	v_mfma_f32_16x16x32_fp8_fp8 v[92:95], a[156:157], v[204:205], v[92:95]// 000000003ED0: D3F3005C 0D73999C
	v_mfma_f32_16x16x32_fp8_fp8 v[92:95], a[158:159], v[206:207], v[92:95]// 000000003ED8: D3F3005C 0D739D9E
	ds_read_b128 v[236:239], v2 offset:9536                    // 000000003EE0: D9FE2540 EC000002
	s_waitcnt vmcnt(20)                                        // 000000003EE8: BF8C4F74
	v_mfma_f32_16x16x32_fp8_fp8 v[96:99], a[160:161], v[176:177], v[96:99]// 000000003EEC: D3F30060 0D8361A0
	v_mfma_f32_16x16x32_fp8_fp8 v[96:99], a[162:163], v[178:179], v[96:99]// 000000003EF4: D3F30060 0D8365A2
	buffer_load_dwordx4 a[64:67], v38, s[24:27], 0 offen       // 000000003EFC: E05C1000 80864026
	v_mfma_f32_16x16x32_fp8_fp8 v[96:99], a[164:165], v[180:181], v[96:99]// 000000003F04: D3F30060 0D8369A4
	v_mfma_f32_16x16x32_fp8_fp8 v[96:99], a[166:167], v[182:183], v[96:99]// 000000003F0C: D3F30060 0D836DA6
	v_mfma_f32_16x16x32_fp8_fp8 v[96:99], a[168:169], v[184:185], v[96:99]// 000000003F14: D3F30060 0D8371A8
	v_mfma_f32_16x16x32_fp8_fp8 v[96:99], a[170:171], v[186:187], v[96:99]// 000000003F1C: D3F30060 0D8375AA
	buffer_load_dwordx4 a[68:71], v38, s[24:27], 0 offen offset:1024// 000000003F24: E05C1400 80864426
	v_mfma_f32_16x16x32_fp8_fp8 v[96:99], a[172:173], v[188:189], v[96:99]// 000000003F2C: D3F30060 0D8379AC
	v_mfma_f32_16x16x32_fp8_fp8 v[96:99], a[174:175], v[190:191], v[96:99]// 000000003F34: D3F30060 0D837DAE
	v_mfma_f32_16x16x32_fp8_fp8 v[100:103], a[160:161], v[192:193], v[100:103]// 000000003F3C: D3F30064 0D9381A0
	v_mfma_f32_16x16x32_fp8_fp8 v[100:103], a[162:163], v[194:195], v[100:103]// 000000003F44: D3F30064 0D9385A2
	buffer_load_dwordx4 a[72:75], v38, s[24:27], 0 offen offset:2048// 000000003F4C: E05C1800 80864826
	v_mfma_f32_16x16x32_fp8_fp8 v[100:103], a[164:165], v[196:197], v[100:103]// 000000003F54: D3F30064 0D9389A4
	v_mfma_f32_16x16x32_fp8_fp8 v[100:103], a[166:167], v[198:199], v[100:103]// 000000003F5C: D3F30064 0D938DA6
	v_mfma_f32_16x16x32_fp8_fp8 v[100:103], a[168:169], v[200:201], v[100:103]// 000000003F64: D3F30064 0D9391A8
	v_mfma_f32_16x16x32_fp8_fp8 v[100:103], a[170:171], v[202:203], v[100:103]// 000000003F6C: D3F30064 0D9395AA
	buffer_load_dwordx4 a[76:79], v38, s[24:27], 0 offen offset:3072// 000000003F74: E05C1C00 80864C26
	v_mfma_f32_16x16x32_fp8_fp8 v[100:103], a[172:173], v[204:205], v[100:103]// 000000003F7C: D3F30064 0D9399AC
	v_mfma_f32_16x16x32_fp8_fp8 v[100:103], a[174:175], v[206:207], v[100:103]// 000000003F84: D3F30064 0D939DAE
	s_waitcnt vmcnt(20)                                        // 000000003F8C: BF8C4F74
	v_mfma_f32_16x16x32_fp8_fp8 v[104:107], a[176:177], v[176:177], v[104:107]// 000000003F90: D3F30068 0DA361B0
	v_mfma_f32_16x16x32_fp8_fp8 v[104:107], a[178:179], v[178:179], v[104:107]// 000000003F98: D3F30068 0DA365B2
	buffer_load_dwordx4 a[80:83], v39, s[24:27], 0 offen       // 000000003FA0: E05C1000 80865027
	v_mfma_f32_16x16x32_fp8_fp8 v[104:107], a[180:181], v[180:181], v[104:107]// 000000003FA8: D3F30068 0DA369B4
	v_mfma_f32_16x16x32_fp8_fp8 v[104:107], a[182:183], v[182:183], v[104:107]// 000000003FB0: D3F30068 0DA36DB6
	v_mfma_f32_16x16x32_fp8_fp8 v[104:107], a[184:185], v[184:185], v[104:107]// 000000003FB8: D3F30068 0DA371B8
	v_mfma_f32_16x16x32_fp8_fp8 v[104:107], a[186:187], v[186:187], v[104:107]// 000000003FC0: D3F30068 0DA375BA
	buffer_load_dwordx4 a[84:87], v39, s[24:27], 0 offen offset:1024// 000000003FC8: E05C1400 80865427
	v_mfma_f32_16x16x32_fp8_fp8 v[104:107], a[188:189], v[188:189], v[104:107]// 000000003FD0: D3F30068 0DA379BC
	v_mfma_f32_16x16x32_fp8_fp8 v[104:107], a[190:191], v[190:191], v[104:107]// 000000003FD8: D3F30068 0DA37DBE
	v_mfma_f32_16x16x32_fp8_fp8 v[108:111], a[176:177], v[192:193], v[108:111]// 000000003FE0: D3F3006C 0DB381B0
	v_mfma_f32_16x16x32_fp8_fp8 v[108:111], a[178:179], v[194:195], v[108:111]// 000000003FE8: D3F3006C 0DB385B2
	buffer_load_dwordx4 a[88:91], v39, s[24:27], 0 offen offset:2048// 000000003FF0: E05C1800 80865827
	v_mfma_f32_16x16x32_fp8_fp8 v[108:111], a[180:181], v[196:197], v[108:111]// 000000003FF8: D3F3006C 0DB389B4
	v_mfma_f32_16x16x32_fp8_fp8 v[108:111], a[182:183], v[198:199], v[108:111]// 000000004000: D3F3006C 0DB38DB6
	v_mfma_f32_16x16x32_fp8_fp8 v[108:111], a[184:185], v[200:201], v[108:111]// 000000004008: D3F3006C 0DB391B8
	v_mfma_f32_16x16x32_fp8_fp8 v[108:111], a[186:187], v[202:203], v[108:111]// 000000004010: D3F3006C 0DB395BA
	buffer_load_dwordx4 a[92:95], v39, s[24:27], 0 offen offset:3072// 000000004018: E05C1C00 80865C27
	v_mfma_f32_16x16x32_fp8_fp8 v[108:111], a[188:189], v[204:205], v[108:111]// 000000004020: D3F3006C 0DB399BC
	v_mfma_f32_16x16x32_fp8_fp8 v[108:111], a[190:191], v[206:207], v[108:111]// 000000004028: D3F3006C 0DB39DBE
	s_add_u32 s60, 0x200, s80                                  // 000000004030: 803C50FF 00000200
	s_cmp_lt_u32 s60, s81                                      // 000000004038: BF0A513C
	s_cselect_b32 s57, s57, 0                                  // 00000000403C: 85398039
	s_add_u32 s60, 0x200, s80                                  // 000000004040: 803C50FF 00000200
	s_cmp_lt_u32 s60, s81                                      // 000000004048: BF0A513C
	s_cselect_b32 s58, s58, 0                                  // 00000000404C: 853A803A
	s_add_u32 s20, s57, s20                                    // 000000004050: 80141439
	s_addc_u32 s21, 0, s21                                     // 000000004054: 82151580
	s_add_u32 s24, s58, s24                                    // 000000004058: 8018183A
	s_addc_u32 s25, 0, s25                                     // 00000000405C: 82191980
	s_add_u32 s92, s90, s92                                    // 000000004060: 805C5C5A
	s_addc_u32 s93, 0, s93                                     // 000000004064: 825D5D80
	s_addk_i32 s80, 0x100                                      // 000000004068: B7500100
	s_cmp_lt_i32 s80, s81                                      // 00000000406C: BF045150
	s_cbranch_scc0 label_06CA                                  // 000000004070: BF84022D
	s_waitcnt vmcnt(16) lgkmcnt(0)                             // 000000004074: BF8C4070
	s_barrier                                                  // 000000004078: BF8A0000
	v_mfma_f32_16x16x32_fp8_fp8 v[128:131], a[0:1], v[208:209], v[128:131]// 00000000407C: D3F30080 0E03A100
	v_mfma_f32_16x16x32_fp8_fp8 v[128:131], a[2:3], v[210:211], v[128:131]// 000000004084: D3F30080 0E03A502
	buffer_load_dwordx4 a[96:99], v34, s[92:95], 0 offen       // 00000000408C: E05C1000 80976022
	v_mfma_f32_16x16x32_fp8_fp8 v[128:131], a[4:5], v[212:213], v[128:131]// 000000004094: D3F30080 0E03A904
	v_mfma_f32_16x16x32_fp8_fp8 v[128:131], a[6:7], v[214:215], v[128:131]// 00000000409C: D3F30080 0E03AD06
	buffer_load_dword v26, s[20:23], 0 offen lds               // 0000000040A4: E0511000 8005001A
	s_add_u32 m0, 0x100, s50                                   // 0000000040AC: 807C32FF 00000100
	v_mfma_f32_16x16x32_fp8_fp8 v[128:131], a[8:9], v[216:217], v[128:131]// 0000000040B4: D3F30080 0E03B108
	v_mfma_f32_16x16x32_fp8_fp8 v[128:131], a[10:11], v[218:219], v[128:131]// 0000000040BC: D3F30080 0E03B50A
	buffer_load_dwordx4 a[100:103], v34, s[92:95], 0 offen offset:1024// 0000000040C4: E05C1400 80976422
	v_mfma_f32_16x16x32_fp8_fp8 v[128:131], a[12:13], v[220:221], v[128:131]// 0000000040CC: D3F30080 0E03B90C
	v_mfma_f32_16x16x32_fp8_fp8 v[128:131], a[14:15], v[222:223], v[128:131]// 0000000040D4: D3F30080 0E03BD0E
	buffer_load_dword v27, s[20:23], 0 offen lds               // 0000000040DC: E0511000 8005001B
	s_add_u32 m0, 0x200, s50                                   // 0000000040E4: 807C32FF 00000200
	v_mfma_f32_16x16x32_fp8_fp8 v[132:135], a[0:1], v[224:225], v[132:135]// 0000000040EC: D3F30084 0E13C100
	v_mfma_f32_16x16x32_fp8_fp8 v[132:135], a[2:3], v[226:227], v[132:135]// 0000000040F4: D3F30084 0E13C502
	buffer_load_dwordx4 a[104:107], v34, s[92:95], 0 offen offset:2048// 0000000040FC: E05C1800 80976822
	v_mfma_f32_16x16x32_fp8_fp8 v[132:135], a[4:5], v[228:229], v[132:135]// 000000004104: D3F30084 0E13C904
	v_mfma_f32_16x16x32_fp8_fp8 v[132:135], a[6:7], v[230:231], v[132:135]// 00000000410C: D3F30084 0E13CD06
	buffer_load_dword v28, s[20:23], 0 offen lds               // 000000004114: E0511000 8005001C
	s_add_u32 m0, 0x300, s50                                   // 00000000411C: 807C32FF 00000300
	v_mfma_f32_16x16x32_fp8_fp8 v[132:135], a[8:9], v[232:233], v[132:135]// 000000004124: D3F30084 0E13D108
	v_mfma_f32_16x16x32_fp8_fp8 v[132:135], a[10:11], v[234:235], v[132:135]// 00000000412C: D3F30084 0E13D50A
	buffer_load_dwordx4 a[108:111], v34, s[92:95], 0 offen offset:3072// 000000004134: E05C1C00 80976C22
	v_mfma_f32_16x16x32_fp8_fp8 v[132:135], a[12:13], v[236:237], v[132:135]// 00000000413C: D3F30084 0E13D90C
	v_mfma_f32_16x16x32_fp8_fp8 v[132:135], a[14:15], v[238:239], v[132:135]// 000000004144: D3F30084 0E13DD0E
	buffer_load_dword v29, s[20:23], 0 offen lds               // 00000000414C: E0511000 8005001D
	s_add_u32 m0, 0x400, s50                                   // 000000004154: 807C32FF 00000400
	v_mfma_f32_16x16x32_fp8_fp8 v[136:139], a[16:17], v[208:209], v[136:139]// 00000000415C: D3F30088 0E23A110
	v_mfma_f32_16x16x32_fp8_fp8 v[136:139], a[18:19], v[210:211], v[136:139]// 000000004164: D3F30088 0E23A512
	buffer_load_dwordx4 a[112:115], v35, s[92:95], 0 offen     // 00000000416C: E05C1000 80977023
	v_mfma_f32_16x16x32_fp8_fp8 v[136:139], a[20:21], v[212:213], v[136:139]// 000000004174: D3F30088 0E23A914
	v_mfma_f32_16x16x32_fp8_fp8 v[136:139], a[22:23], v[214:215], v[136:139]// 00000000417C: D3F30088 0E23AD16
	buffer_load_dword v30, s[20:23], 0 offen lds               // 000000004184: E0511000 8005001E
	s_add_u32 m0, 0x500, s50                                   // 00000000418C: 807C32FF 00000500
	v_mfma_f32_16x16x32_fp8_fp8 v[136:139], a[24:25], v[216:217], v[136:139]// 000000004194: D3F30088 0E23B118
	v_mfma_f32_16x16x32_fp8_fp8 v[136:139], a[26:27], v[218:219], v[136:139]// 00000000419C: D3F30088 0E23B51A
	buffer_load_dwordx4 a[116:119], v35, s[92:95], 0 offen offset:1024// 0000000041A4: E05C1400 80977423
	v_mfma_f32_16x16x32_fp8_fp8 v[136:139], a[28:29], v[220:221], v[136:139]// 0000000041AC: D3F30088 0E23B91C
	v_mfma_f32_16x16x32_fp8_fp8 v[136:139], a[30:31], v[222:223], v[136:139]// 0000000041B4: D3F30088 0E23BD1E
	buffer_load_dword v31, s[20:23], 0 offen lds               // 0000000041BC: E0511000 8005001F
	s_add_u32 m0, 0x600, s50                                   // 0000000041C4: 807C32FF 00000600
	v_mfma_f32_16x16x32_fp8_fp8 v[140:143], a[16:17], v[224:225], v[140:143]// 0000000041CC: D3F3008C 0E33C110
	v_mfma_f32_16x16x32_fp8_fp8 v[140:143], a[18:19], v[226:227], v[140:143]// 0000000041D4: D3F3008C 0E33C512
	buffer_load_dwordx4 a[120:123], v35, s[92:95], 0 offen offset:2048// 0000000041DC: E05C1800 80977823
	v_mfma_f32_16x16x32_fp8_fp8 v[140:143], a[20:21], v[228:229], v[140:143]// 0000000041E4: D3F3008C 0E33C914
	v_mfma_f32_16x16x32_fp8_fp8 v[140:143], a[22:23], v[230:231], v[140:143]// 0000000041EC: D3F3008C 0E33CD16
	buffer_load_dword v32, s[20:23], 0 offen lds               // 0000000041F4: E0511000 80050020
	s_add_u32 m0, 0x700, s50                                   // 0000000041FC: 807C32FF 00000700
	v_mfma_f32_16x16x32_fp8_fp8 v[140:143], a[24:25], v[232:233], v[140:143]// 000000004204: D3F3008C 0E33D118
	v_mfma_f32_16x16x32_fp8_fp8 v[140:143], a[26:27], v[234:235], v[140:143]// 00000000420C: D3F3008C 0E33D51A
	buffer_load_dwordx4 a[124:127], v35, s[92:95], 0 offen offset:3072// 000000004214: E05C1C00 80977C23
	v_mfma_f32_16x16x32_fp8_fp8 v[140:143], a[28:29], v[236:237], v[140:143]// 00000000421C: D3F3008C 0E33D91C
	v_mfma_f32_16x16x32_fp8_fp8 v[140:143], a[30:31], v[238:239], v[140:143]// 000000004224: D3F3008C 0E33DD1E
	buffer_load_dword v33, s[20:23], 0 offen lds               // 00000000422C: E0511000 80050021
	s_add_u32 m0, 0, s51                                       // 000000004234: 807C3380
	s_waitcnt vmcnt(28)                                        // 000000004238: BF8C4F7C
	v_mfma_f32_16x16x32_fp8_fp8 v[144:147], a[32:33], v[208:209], v[144:147]// 00000000423C: D3F30090 0E43A120
	v_mfma_f32_16x16x32_fp8_fp8 v[144:147], a[34:35], v[210:211], v[144:147]// 000000004244: D3F30090 0E43A522
	buffer_load_dwordx4 a[128:131], v36, s[92:95], 0 offen     // 00000000424C: E05C1000 80978024
	v_mfma_f32_16x16x32_fp8_fp8 v[144:147], a[36:37], v[212:213], v[144:147]// 000000004254: D3F30090 0E43A924
	v_mfma_f32_16x16x32_fp8_fp8 v[144:147], a[38:39], v[214:215], v[144:147]// 00000000425C: D3F30090 0E43AD26
	v_mfma_f32_16x16x32_fp8_fp8 v[144:147], a[40:41], v[216:217], v[144:147]// 000000004264: D3F30090 0E43B128
	v_mfma_f32_16x16x32_fp8_fp8 v[144:147], a[42:43], v[218:219], v[144:147]// 00000000426C: D3F30090 0E43B52A
	buffer_load_dwordx4 a[132:135], v36, s[92:95], 0 offen offset:1024// 000000004274: E05C1400 80978424
	v_mfma_f32_16x16x32_fp8_fp8 v[144:147], a[44:45], v[220:221], v[144:147]// 00000000427C: D3F30090 0E43B92C
	v_mfma_f32_16x16x32_fp8_fp8 v[144:147], a[46:47], v[222:223], v[144:147]// 000000004284: D3F30090 0E43BD2E
	v_mfma_f32_16x16x32_fp8_fp8 v[148:151], a[32:33], v[224:225], v[148:151]// 00000000428C: D3F30094 0E53C120
	v_mfma_f32_16x16x32_fp8_fp8 v[148:151], a[34:35], v[226:227], v[148:151]// 000000004294: D3F30094 0E53C522
	buffer_load_dwordx4 a[136:139], v36, s[92:95], 0 offen offset:2048// 00000000429C: E05C1800 80978824
	v_mfma_f32_16x16x32_fp8_fp8 v[148:151], a[36:37], v[228:229], v[148:151]// 0000000042A4: D3F30094 0E53C924
	v_mfma_f32_16x16x32_fp8_fp8 v[148:151], a[38:39], v[230:231], v[148:151]// 0000000042AC: D3F30094 0E53CD26
	v_mfma_f32_16x16x32_fp8_fp8 v[148:151], a[40:41], v[232:233], v[148:151]// 0000000042B4: D3F30094 0E53D128
	v_mfma_f32_16x16x32_fp8_fp8 v[148:151], a[42:43], v[234:235], v[148:151]// 0000000042BC: D3F30094 0E53D52A
	buffer_load_dwordx4 a[140:143], v36, s[92:95], 0 offen offset:3072// 0000000042C4: E05C1C00 80978C24
	v_mfma_f32_16x16x32_fp8_fp8 v[148:151], a[44:45], v[236:237], v[148:151]// 0000000042CC: D3F30094 0E53D92C
	v_mfma_f32_16x16x32_fp8_fp8 v[148:151], a[46:47], v[238:239], v[148:151]// 0000000042D4: D3F30094 0E53DD2E
	s_waitcnt vmcnt(28)                                        // 0000000042DC: BF8C4F7C
	v_mfma_f32_16x16x32_fp8_fp8 v[152:155], a[48:49], v[208:209], v[152:155]// 0000000042E0: D3F30098 0E63A130
	v_mfma_f32_16x16x32_fp8_fp8 v[152:155], a[50:51], v[210:211], v[152:155]// 0000000042E8: D3F30098 0E63A532
	buffer_load_dwordx4 a[144:147], v37, s[92:95], 0 offen     // 0000000042F0: E05C1000 80979025
	v_mfma_f32_16x16x32_fp8_fp8 v[152:155], a[52:53], v[212:213], v[152:155]// 0000000042F8: D3F30098 0E63A934
	v_mfma_f32_16x16x32_fp8_fp8 v[152:155], a[54:55], v[214:215], v[152:155]// 000000004300: D3F30098 0E63AD36
	v_mfma_f32_16x16x32_fp8_fp8 v[152:155], a[56:57], v[216:217], v[152:155]// 000000004308: D3F30098 0E63B138
	v_mfma_f32_16x16x32_fp8_fp8 v[152:155], a[58:59], v[218:219], v[152:155]// 000000004310: D3F30098 0E63B53A
	buffer_load_dwordx4 a[148:151], v37, s[92:95], 0 offen offset:1024// 000000004318: E05C1400 80979425
	v_mfma_f32_16x16x32_fp8_fp8 v[152:155], a[60:61], v[220:221], v[152:155]// 000000004320: D3F30098 0E63B93C
	v_mfma_f32_16x16x32_fp8_fp8 v[152:155], a[62:63], v[222:223], v[152:155]// 000000004328: D3F30098 0E63BD3E
	v_mfma_f32_16x16x32_fp8_fp8 v[156:159], a[48:49], v[224:225], v[156:159]// 000000004330: D3F3009C 0E73C130
	v_mfma_f32_16x16x32_fp8_fp8 v[156:159], a[50:51], v[226:227], v[156:159]// 000000004338: D3F3009C 0E73C532
	buffer_load_dwordx4 a[152:155], v37, s[92:95], 0 offen offset:2048// 000000004340: E05C1800 80979825
	v_mfma_f32_16x16x32_fp8_fp8 v[156:159], a[52:53], v[228:229], v[156:159]// 000000004348: D3F3009C 0E73C934
	v_mfma_f32_16x16x32_fp8_fp8 v[156:159], a[54:55], v[230:231], v[156:159]// 000000004350: D3F3009C 0E73CD36
	v_mfma_f32_16x16x32_fp8_fp8 v[156:159], a[56:57], v[232:233], v[156:159]// 000000004358: D3F3009C 0E73D138
	v_mfma_f32_16x16x32_fp8_fp8 v[156:159], a[58:59], v[234:235], v[156:159]// 000000004360: D3F3009C 0E73D53A
	buffer_load_dwordx4 a[156:159], v37, s[92:95], 0 offen offset:3072// 000000004368: E05C1C00 80979C25
	v_mfma_f32_16x16x32_fp8_fp8 v[156:159], a[60:61], v[236:237], v[156:159]// 000000004370: D3F3009C 0E73D93C
	v_mfma_f32_16x16x32_fp8_fp8 v[156:159], a[62:63], v[238:239], v[156:159]// 000000004378: D3F3009C 0E73DD3E
	s_waitcnt vmcnt(28)                                        // 000000004380: BF8C4F7C
	v_mfma_f32_16x16x32_fp8_fp8 v[160:163], a[64:65], v[208:209], v[160:163]// 000000004384: D3F300A0 0E83A140
	v_mfma_f32_16x16x32_fp8_fp8 v[160:163], a[66:67], v[210:211], v[160:163]// 00000000438C: D3F300A0 0E83A542
	buffer_load_dwordx4 a[160:163], v38, s[92:95], 0 offen     // 000000004394: E05C1000 8097A026
	v_mfma_f32_16x16x32_fp8_fp8 v[160:163], a[68:69], v[212:213], v[160:163]// 00000000439C: D3F300A0 0E83A944
	v_mfma_f32_16x16x32_fp8_fp8 v[160:163], a[70:71], v[214:215], v[160:163]// 0000000043A4: D3F300A0 0E83AD46
	v_mfma_f32_16x16x32_fp8_fp8 v[160:163], a[72:73], v[216:217], v[160:163]// 0000000043AC: D3F300A0 0E83B148
	v_mfma_f32_16x16x32_fp8_fp8 v[160:163], a[74:75], v[218:219], v[160:163]// 0000000043B4: D3F300A0 0E83B54A
	buffer_load_dwordx4 a[164:167], v38, s[92:95], 0 offen offset:1024// 0000000043BC: E05C1400 8097A426
	v_mfma_f32_16x16x32_fp8_fp8 v[160:163], a[76:77], v[220:221], v[160:163]// 0000000043C4: D3F300A0 0E83B94C
	v_mfma_f32_16x16x32_fp8_fp8 v[160:163], a[78:79], v[222:223], v[160:163]// 0000000043CC: D3F300A0 0E83BD4E
	v_mfma_f32_16x16x32_fp8_fp8 v[164:167], a[64:65], v[224:225], v[164:167]// 0000000043D4: D3F300A4 0E93C140
	v_mfma_f32_16x16x32_fp8_fp8 v[164:167], a[66:67], v[226:227], v[164:167]// 0000000043DC: D3F300A4 0E93C542
	buffer_load_dwordx4 a[168:171], v38, s[92:95], 0 offen offset:2048// 0000000043E4: E05C1800 8097A826
	v_mfma_f32_16x16x32_fp8_fp8 v[164:167], a[68:69], v[228:229], v[164:167]// 0000000043EC: D3F300A4 0E93C944
	v_mfma_f32_16x16x32_fp8_fp8 v[164:167], a[70:71], v[230:231], v[164:167]// 0000000043F4: D3F300A4 0E93CD46
	v_mfma_f32_16x16x32_fp8_fp8 v[164:167], a[72:73], v[232:233], v[164:167]// 0000000043FC: D3F300A4 0E93D148
	v_mfma_f32_16x16x32_fp8_fp8 v[164:167], a[74:75], v[234:235], v[164:167]// 000000004404: D3F300A4 0E93D54A
	buffer_load_dwordx4 a[172:175], v38, s[92:95], 0 offen offset:3072// 00000000440C: E05C1C00 8097AC26
	v_mfma_f32_16x16x32_fp8_fp8 v[164:167], a[76:77], v[236:237], v[164:167]// 000000004414: D3F300A4 0E93D94C
	v_mfma_f32_16x16x32_fp8_fp8 v[164:167], a[78:79], v[238:239], v[164:167]// 00000000441C: D3F300A4 0E93DD4E
	s_waitcnt vmcnt(28)                                        // 000000004424: BF8C4F7C
	v_mfma_f32_16x16x32_fp8_fp8 v[168:171], a[80:81], v[208:209], v[168:171]// 000000004428: D3F300A8 0EA3A150
	v_mfma_f32_16x16x32_fp8_fp8 v[168:171], a[82:83], v[210:211], v[168:171]// 000000004430: D3F300A8 0EA3A552
	buffer_load_dwordx4 a[176:179], v39, s[92:95], 0 offen     // 000000004438: E05C1000 8097B027
	v_mfma_f32_16x16x32_fp8_fp8 v[168:171], a[84:85], v[212:213], v[168:171]// 000000004440: D3F300A8 0EA3A954
	v_mfma_f32_16x16x32_fp8_fp8 v[168:171], a[86:87], v[214:215], v[168:171]// 000000004448: D3F300A8 0EA3AD56
	v_mfma_f32_16x16x32_fp8_fp8 v[168:171], a[88:89], v[216:217], v[168:171]// 000000004450: D3F300A8 0EA3B158
	v_mfma_f32_16x16x32_fp8_fp8 v[168:171], a[90:91], v[218:219], v[168:171]// 000000004458: D3F300A8 0EA3B55A
	buffer_load_dwordx4 a[180:183], v39, s[92:95], 0 offen offset:1024// 000000004460: E05C1400 8097B427
	v_mfma_f32_16x16x32_fp8_fp8 v[168:171], a[92:93], v[220:221], v[168:171]// 000000004468: D3F300A8 0EA3B95C
	v_mfma_f32_16x16x32_fp8_fp8 v[168:171], a[94:95], v[222:223], v[168:171]// 000000004470: D3F300A8 0EA3BD5E
	v_mfma_f32_16x16x32_fp8_fp8 v[172:175], a[80:81], v[224:225], v[172:175]// 000000004478: D3F300AC 0EB3C150
	v_mfma_f32_16x16x32_fp8_fp8 v[172:175], a[82:83], v[226:227], v[172:175]// 000000004480: D3F300AC 0EB3C552
	buffer_load_dwordx4 a[184:187], v39, s[92:95], 0 offen offset:2048// 000000004488: E05C1800 8097B827
	v_mfma_f32_16x16x32_fp8_fp8 v[172:175], a[84:85], v[228:229], v[172:175]// 000000004490: D3F300AC 0EB3C954
	v_mfma_f32_16x16x32_fp8_fp8 v[172:175], a[86:87], v[230:231], v[172:175]// 000000004498: D3F300AC 0EB3CD56
	v_mfma_f32_16x16x32_fp8_fp8 v[172:175], a[88:89], v[232:233], v[172:175]// 0000000044A0: D3F300AC 0EB3D158
	v_mfma_f32_16x16x32_fp8_fp8 v[172:175], a[90:91], v[234:235], v[172:175]// 0000000044A8: D3F300AC 0EB3D55A
	buffer_load_dwordx4 a[188:191], v39, s[92:95], 0 offen offset:3072// 0000000044B0: E05C1C00 8097BC27
	v_mfma_f32_16x16x32_fp8_fp8 v[172:175], a[92:93], v[236:237], v[172:175]// 0000000044B8: D3F300AC 0EB3D95C
	v_mfma_f32_16x16x32_fp8_fp8 v[172:175], a[94:95], v[238:239], v[172:175]// 0000000044C0: D3F300AC 0EB3DD5E
	s_waitcnt vmcnt(16)                                        // 0000000044C8: BF8C4F70
	s_barrier                                                  // 0000000044CC: BF8A0000
	v_mfma_f32_16x16x32_fp8_fp8 v[64:67], a[96:97], v[208:209], v[64:67]// 0000000044D0: D3F30040 0D03A160
	v_mfma_f32_16x16x32_fp8_fp8 v[64:67], a[98:99], v[210:211], v[64:67]// 0000000044D8: D3F30040 0D03A562
	buffer_load_dwordx4 a[0:3], v34, s[24:27], 0 offen         // 0000000044E0: E05C1000 80860022
	v_mfma_f32_16x16x32_fp8_fp8 v[64:67], a[100:101], v[212:213], v[64:67]// 0000000044E8: D3F30040 0D03A964
	v_mfma_f32_16x16x32_fp8_fp8 v[64:67], a[102:103], v[214:215], v[64:67]// 0000000044F0: D3F30040 0D03AD66
	v_mfma_f32_16x16x32_fp8_fp8 v[64:67], a[104:105], v[216:217], v[64:67]// 0000000044F8: D3F30040 0D03B168
	v_mfma_f32_16x16x32_fp8_fp8 v[64:67], a[106:107], v[218:219], v[64:67]// 000000004500: D3F30040 0D03B56A
	buffer_load_dwordx4 a[4:7], v34, s[24:27], 0 offen offset:1024// 000000004508: E05C1400 80860422
	v_mfma_f32_16x16x32_fp8_fp8 v[64:67], a[108:109], v[220:221], v[64:67]// 000000004510: D3F30040 0D03B96C
	v_mfma_f32_16x16x32_fp8_fp8 v[64:67], a[110:111], v[222:223], v[64:67]// 000000004518: D3F30040 0D03BD6E
	v_mfma_f32_16x16x32_fp8_fp8 v[68:71], a[96:97], v[224:225], v[68:71]// 000000004520: D3F30044 0D13C160
	v_mfma_f32_16x16x32_fp8_fp8 v[68:71], a[98:99], v[226:227], v[68:71]// 000000004528: D3F30044 0D13C562
	buffer_load_dwordx4 a[8:11], v34, s[24:27], 0 offen offset:2048// 000000004530: E05C1800 80860822
	v_mfma_f32_16x16x32_fp8_fp8 v[68:71], a[100:101], v[228:229], v[68:71]// 000000004538: D3F30044 0D13C964
	v_mfma_f32_16x16x32_fp8_fp8 v[68:71], a[102:103], v[230:231], v[68:71]// 000000004540: D3F30044 0D13CD66
	v_mfma_f32_16x16x32_fp8_fp8 v[68:71], a[104:105], v[232:233], v[68:71]// 000000004548: D3F30044 0D13D168
	v_mfma_f32_16x16x32_fp8_fp8 v[68:71], a[106:107], v[234:235], v[68:71]// 000000004550: D3F30044 0D13D56A
	buffer_load_dwordx4 a[12:15], v34, s[24:27], 0 offen offset:3072// 000000004558: E05C1C00 80860C22
	v_mfma_f32_16x16x32_fp8_fp8 v[68:71], a[108:109], v[236:237], v[68:71]// 000000004560: D3F30044 0D13D96C
	v_mfma_f32_16x16x32_fp8_fp8 v[68:71], a[110:111], v[238:239], v[68:71]// 000000004568: D3F30044 0D13DD6E
	v_mfma_f32_16x16x32_fp8_fp8 v[72:75], a[112:113], v[208:209], v[72:75]// 000000004570: D3F30048 0D23A170
	v_mfma_f32_16x16x32_fp8_fp8 v[72:75], a[114:115], v[210:211], v[72:75]// 000000004578: D3F30048 0D23A572
	buffer_load_dwordx4 a[16:19], v35, s[24:27], 0 offen       // 000000004580: E05C1000 80861023
	v_mfma_f32_16x16x32_fp8_fp8 v[72:75], a[116:117], v[212:213], v[72:75]// 000000004588: D3F30048 0D23A974
	v_mfma_f32_16x16x32_fp8_fp8 v[72:75], a[118:119], v[214:215], v[72:75]// 000000004590: D3F30048 0D23AD76
	v_mfma_f32_16x16x32_fp8_fp8 v[72:75], a[120:121], v[216:217], v[72:75]// 000000004598: D3F30048 0D23B178
	v_mfma_f32_16x16x32_fp8_fp8 v[72:75], a[122:123], v[218:219], v[72:75]// 0000000045A0: D3F30048 0D23B57A
	buffer_load_dwordx4 a[20:23], v35, s[24:27], 0 offen offset:1024// 0000000045A8: E05C1400 80861423
	v_mfma_f32_16x16x32_fp8_fp8 v[72:75], a[124:125], v[220:221], v[72:75]// 0000000045B0: D3F30048 0D23B97C
	v_mfma_f32_16x16x32_fp8_fp8 v[72:75], a[126:127], v[222:223], v[72:75]// 0000000045B8: D3F30048 0D23BD7E
	v_mfma_f32_16x16x32_fp8_fp8 v[76:79], a[112:113], v[224:225], v[76:79]// 0000000045C0: D3F3004C 0D33C170
	v_mfma_f32_16x16x32_fp8_fp8 v[76:79], a[114:115], v[226:227], v[76:79]// 0000000045C8: D3F3004C 0D33C572
	buffer_load_dwordx4 a[24:27], v35, s[24:27], 0 offen offset:2048// 0000000045D0: E05C1800 80861823
	v_mfma_f32_16x16x32_fp8_fp8 v[76:79], a[116:117], v[228:229], v[76:79]// 0000000045D8: D3F3004C 0D33C974
	v_mfma_f32_16x16x32_fp8_fp8 v[76:79], a[118:119], v[230:231], v[76:79]// 0000000045E0: D3F3004C 0D33CD76
	v_mfma_f32_16x16x32_fp8_fp8 v[76:79], a[120:121], v[232:233], v[76:79]// 0000000045E8: D3F3004C 0D33D178
	v_mfma_f32_16x16x32_fp8_fp8 v[76:79], a[122:123], v[234:235], v[76:79]// 0000000045F0: D3F3004C 0D33D57A
	buffer_load_dwordx4 a[28:31], v35, s[24:27], 0 offen offset:3072// 0000000045F8: E05C1C00 80861C23
	v_mfma_f32_16x16x32_fp8_fp8 v[76:79], a[124:125], v[236:237], v[76:79]// 000000004600: D3F3004C 0D33D97C
	v_mfma_f32_16x16x32_fp8_fp8 v[76:79], a[126:127], v[238:239], v[76:79]// 000000004608: D3F3004C 0D33DD7E
	s_waitcnt vmcnt(20)                                        // 000000004610: BF8C4F74
	v_mfma_f32_16x16x32_fp8_fp8 v[80:83], a[128:129], v[208:209], v[80:83]// 000000004614: D3F30050 0D43A180
	v_mfma_f32_16x16x32_fp8_fp8 v[80:83], a[130:131], v[210:211], v[80:83]// 00000000461C: D3F30050 0D43A582
	buffer_load_dwordx4 a[32:35], v36, s[24:27], 0 offen       // 000000004624: E05C1000 80862024
	v_mfma_f32_16x16x32_fp8_fp8 v[80:83], a[132:133], v[212:213], v[80:83]// 00000000462C: D3F30050 0D43A984
	v_mfma_f32_16x16x32_fp8_fp8 v[80:83], a[134:135], v[214:215], v[80:83]// 000000004634: D3F30050 0D43AD86
	ds_read_b128 v[176:179], v2                                // 00000000463C: D9FE0000 B0000002
	v_mfma_f32_16x16x32_fp8_fp8 v[80:83], a[136:137], v[216:217], v[80:83]// 000000004644: D3F30050 0D43B188
	v_mfma_f32_16x16x32_fp8_fp8 v[80:83], a[138:139], v[218:219], v[80:83]// 00000000464C: D3F30050 0D43B58A
	buffer_load_dwordx4 a[36:39], v36, s[24:27], 0 offen offset:1024// 000000004654: E05C1400 80862424
	v_mfma_f32_16x16x32_fp8_fp8 v[80:83], a[140:141], v[220:221], v[80:83]// 00000000465C: D3F30050 0D43B98C
	v_mfma_f32_16x16x32_fp8_fp8 v[80:83], a[142:143], v[222:223], v[80:83]// 000000004664: D3F30050 0D43BD8E
	ds_read_b128 v[180:183], v2 offset:64                      // 00000000466C: D9FE0040 B4000002
	v_mfma_f32_16x16x32_fp8_fp8 v[84:87], a[128:129], v[224:225], v[84:87]// 000000004674: D3F30054 0D53C180
	v_mfma_f32_16x16x32_fp8_fp8 v[84:87], a[130:131], v[226:227], v[84:87]// 00000000467C: D3F30054 0D53C582
	buffer_load_dwordx4 a[40:43], v36, s[24:27], 0 offen offset:2048// 000000004684: E05C1800 80862824
	v_mfma_f32_16x16x32_fp8_fp8 v[84:87], a[132:133], v[228:229], v[84:87]// 00000000468C: D3F30054 0D53C984
	v_mfma_f32_16x16x32_fp8_fp8 v[84:87], a[134:135], v[230:231], v[84:87]// 000000004694: D3F30054 0D53CD86
	ds_read_b128 v[184:187], v2 offset:128                     // 00000000469C: D9FE0080 B8000002
	v_mfma_f32_16x16x32_fp8_fp8 v[84:87], a[136:137], v[232:233], v[84:87]// 0000000046A4: D3F30054 0D53D188
	v_mfma_f32_16x16x32_fp8_fp8 v[84:87], a[138:139], v[234:235], v[84:87]// 0000000046AC: D3F30054 0D53D58A
	buffer_load_dwordx4 a[44:47], v36, s[24:27], 0 offen offset:3072// 0000000046B4: E05C1C00 80862C24
	v_mfma_f32_16x16x32_fp8_fp8 v[84:87], a[140:141], v[236:237], v[84:87]// 0000000046BC: D3F30054 0D53D98C
	v_mfma_f32_16x16x32_fp8_fp8 v[84:87], a[142:143], v[238:239], v[84:87]// 0000000046C4: D3F30054 0D53DD8E
	ds_read_b128 v[188:191], v2 offset:192                     // 0000000046CC: D9FE00C0 BC000002
	s_waitcnt vmcnt(20)                                        // 0000000046D4: BF8C4F74
	v_mfma_f32_16x16x32_fp8_fp8 v[88:91], a[144:145], v[208:209], v[88:91]// 0000000046D8: D3F30058 0D63A190
	v_mfma_f32_16x16x32_fp8_fp8 v[88:91], a[146:147], v[210:211], v[88:91]// 0000000046E0: D3F30058 0D63A592
	buffer_load_dwordx4 a[48:51], v37, s[24:27], 0 offen       // 0000000046E8: E05C1000 80863025
	v_mfma_f32_16x16x32_fp8_fp8 v[88:91], a[148:149], v[212:213], v[88:91]// 0000000046F0: D3F30058 0D63A994
	v_mfma_f32_16x16x32_fp8_fp8 v[88:91], a[150:151], v[214:215], v[88:91]// 0000000046F8: D3F30058 0D63AD96
	ds_read_b128 v[192:195], v2 offset:1024                    // 000000004700: D9FE0400 C0000002
	v_mfma_f32_16x16x32_fp8_fp8 v[88:91], a[152:153], v[216:217], v[88:91]// 000000004708: D3F30058 0D63B198
	v_mfma_f32_16x16x32_fp8_fp8 v[88:91], a[154:155], v[218:219], v[88:91]// 000000004710: D3F30058 0D63B59A
	buffer_load_dwordx4 a[52:55], v37, s[24:27], 0 offen offset:1024// 000000004718: E05C1400 80863425
	v_mfma_f32_16x16x32_fp8_fp8 v[88:91], a[156:157], v[220:221], v[88:91]// 000000004720: D3F30058 0D63B99C
	v_mfma_f32_16x16x32_fp8_fp8 v[88:91], a[158:159], v[222:223], v[88:91]// 000000004728: D3F30058 0D63BD9E
	ds_read_b128 v[196:199], v2 offset:1088                    // 000000004730: D9FE0440 C4000002
	v_mfma_f32_16x16x32_fp8_fp8 v[92:95], a[144:145], v[224:225], v[92:95]// 000000004738: D3F3005C 0D73C190
	v_mfma_f32_16x16x32_fp8_fp8 v[92:95], a[146:147], v[226:227], v[92:95]// 000000004740: D3F3005C 0D73C592
	buffer_load_dwordx4 a[56:59], v37, s[24:27], 0 offen offset:2048// 000000004748: E05C1800 80863825
	v_mfma_f32_16x16x32_fp8_fp8 v[92:95], a[148:149], v[228:229], v[92:95]// 000000004750: D3F3005C 0D73C994
	v_mfma_f32_16x16x32_fp8_fp8 v[92:95], a[150:151], v[230:231], v[92:95]// 000000004758: D3F3005C 0D73CD96
	ds_read_b128 v[200:203], v2 offset:1152                    // 000000004760: D9FE0480 C8000002
	v_mfma_f32_16x16x32_fp8_fp8 v[92:95], a[152:153], v[232:233], v[92:95]// 000000004768: D3F3005C 0D73D198
	v_mfma_f32_16x16x32_fp8_fp8 v[92:95], a[154:155], v[234:235], v[92:95]// 000000004770: D3F3005C 0D73D59A
	buffer_load_dwordx4 a[60:63], v37, s[24:27], 0 offen offset:3072// 000000004778: E05C1C00 80863C25
	v_mfma_f32_16x16x32_fp8_fp8 v[92:95], a[156:157], v[236:237], v[92:95]// 000000004780: D3F3005C 0D73D99C
	v_mfma_f32_16x16x32_fp8_fp8 v[92:95], a[158:159], v[238:239], v[92:95]// 000000004788: D3F3005C 0D73DD9E
	ds_read_b128 v[204:207], v2 offset:1216                    // 000000004790: D9FE04C0 CC000002
	s_waitcnt vmcnt(20)                                        // 000000004798: BF8C4F74
	v_mfma_f32_16x16x32_fp8_fp8 v[96:99], a[160:161], v[208:209], v[96:99]// 00000000479C: D3F30060 0D83A1A0
	v_mfma_f32_16x16x32_fp8_fp8 v[96:99], a[162:163], v[210:211], v[96:99]// 0000000047A4: D3F30060 0D83A5A2
	buffer_load_dwordx4 a[64:67], v38, s[24:27], 0 offen       // 0000000047AC: E05C1000 80864026
	v_mfma_f32_16x16x32_fp8_fp8 v[96:99], a[164:165], v[212:213], v[96:99]// 0000000047B4: D3F30060 0D83A9A4
	v_mfma_f32_16x16x32_fp8_fp8 v[96:99], a[166:167], v[214:215], v[96:99]// 0000000047BC: D3F30060 0D83ADA6
	v_mfma_f32_16x16x32_fp8_fp8 v[96:99], a[168:169], v[216:217], v[96:99]// 0000000047C4: D3F30060 0D83B1A8
	v_mfma_f32_16x16x32_fp8_fp8 v[96:99], a[170:171], v[218:219], v[96:99]// 0000000047CC: D3F30060 0D83B5AA
	buffer_load_dwordx4 a[68:71], v38, s[24:27], 0 offen offset:1024// 0000000047D4: E05C1400 80864426
	v_mfma_f32_16x16x32_fp8_fp8 v[96:99], a[172:173], v[220:221], v[96:99]// 0000000047DC: D3F30060 0D83B9AC
	v_mfma_f32_16x16x32_fp8_fp8 v[96:99], a[174:175], v[222:223], v[96:99]// 0000000047E4: D3F30060 0D83BDAE
	v_mfma_f32_16x16x32_fp8_fp8 v[100:103], a[160:161], v[224:225], v[100:103]// 0000000047EC: D3F30064 0D93C1A0
	v_mfma_f32_16x16x32_fp8_fp8 v[100:103], a[162:163], v[226:227], v[100:103]// 0000000047F4: D3F30064 0D93C5A2
	buffer_load_dwordx4 a[72:75], v38, s[24:27], 0 offen offset:2048// 0000000047FC: E05C1800 80864826
	v_mfma_f32_16x16x32_fp8_fp8 v[100:103], a[164:165], v[228:229], v[100:103]// 000000004804: D3F30064 0D93C9A4
	v_mfma_f32_16x16x32_fp8_fp8 v[100:103], a[166:167], v[230:231], v[100:103]// 00000000480C: D3F30064 0D93CDA6
	v_mfma_f32_16x16x32_fp8_fp8 v[100:103], a[168:169], v[232:233], v[100:103]// 000000004814: D3F30064 0D93D1A8
	v_mfma_f32_16x16x32_fp8_fp8 v[100:103], a[170:171], v[234:235], v[100:103]// 00000000481C: D3F30064 0D93D5AA
	buffer_load_dwordx4 a[76:79], v38, s[24:27], 0 offen offset:3072// 000000004824: E05C1C00 80864C26
	v_mfma_f32_16x16x32_fp8_fp8 v[100:103], a[172:173], v[236:237], v[100:103]// 00000000482C: D3F30064 0D93D9AC
	v_mfma_f32_16x16x32_fp8_fp8 v[100:103], a[174:175], v[238:239], v[100:103]// 000000004834: D3F30064 0D93DDAE
	s_waitcnt vmcnt(20)                                        // 00000000483C: BF8C4F74
	v_mfma_f32_16x16x32_fp8_fp8 v[104:107], a[176:177], v[208:209], v[104:107]// 000000004840: D3F30068 0DA3A1B0
	v_mfma_f32_16x16x32_fp8_fp8 v[104:107], a[178:179], v[210:211], v[104:107]// 000000004848: D3F30068 0DA3A5B2
	buffer_load_dwordx4 a[80:83], v39, s[24:27], 0 offen       // 000000004850: E05C1000 80865027
	v_mfma_f32_16x16x32_fp8_fp8 v[104:107], a[180:181], v[212:213], v[104:107]// 000000004858: D3F30068 0DA3A9B4
	v_mfma_f32_16x16x32_fp8_fp8 v[104:107], a[182:183], v[214:215], v[104:107]// 000000004860: D3F30068 0DA3ADB6
	v_mfma_f32_16x16x32_fp8_fp8 v[104:107], a[184:185], v[216:217], v[104:107]// 000000004868: D3F30068 0DA3B1B8
	v_mfma_f32_16x16x32_fp8_fp8 v[104:107], a[186:187], v[218:219], v[104:107]// 000000004870: D3F30068 0DA3B5BA
	buffer_load_dwordx4 a[84:87], v39, s[24:27], 0 offen offset:1024// 000000004878: E05C1400 80865427
	v_mfma_f32_16x16x32_fp8_fp8 v[104:107], a[188:189], v[220:221], v[104:107]// 000000004880: D3F30068 0DA3B9BC
	v_mfma_f32_16x16x32_fp8_fp8 v[104:107], a[190:191], v[222:223], v[104:107]// 000000004888: D3F30068 0DA3BDBE
	v_mfma_f32_16x16x32_fp8_fp8 v[108:111], a[176:177], v[224:225], v[108:111]// 000000004890: D3F3006C 0DB3C1B0
	v_mfma_f32_16x16x32_fp8_fp8 v[108:111], a[178:179], v[226:227], v[108:111]// 000000004898: D3F3006C 0DB3C5B2
	buffer_load_dwordx4 a[88:91], v39, s[24:27], 0 offen offset:2048// 0000000048A0: E05C1800 80865827
	v_mfma_f32_16x16x32_fp8_fp8 v[108:111], a[180:181], v[228:229], v[108:111]// 0000000048A8: D3F3006C 0DB3C9B4
	v_mfma_f32_16x16x32_fp8_fp8 v[108:111], a[182:183], v[230:231], v[108:111]// 0000000048B0: D3F3006C 0DB3CDB6
	v_mfma_f32_16x16x32_fp8_fp8 v[108:111], a[184:185], v[232:233], v[108:111]// 0000000048B8: D3F3006C 0DB3D1B8
	v_mfma_f32_16x16x32_fp8_fp8 v[108:111], a[186:187], v[234:235], v[108:111]// 0000000048C0: D3F3006C 0DB3D5BA
	buffer_load_dwordx4 a[92:95], v39, s[24:27], 0 offen offset:3072// 0000000048C8: E05C1C00 80865C27
	v_mfma_f32_16x16x32_fp8_fp8 v[108:111], a[188:189], v[236:237], v[108:111]// 0000000048D0: D3F3006C 0DB3D9BC
	v_mfma_f32_16x16x32_fp8_fp8 v[108:111], a[190:191], v[238:239], v[108:111]// 0000000048D8: D3F3006C 0DB3DDBE
	s_add_u32 s60, 0x200, s80                                  // 0000000048E0: 803C50FF 00000200
	s_cmp_lt_u32 s60, s81                                      // 0000000048E8: BF0A513C
	s_cselect_b32 s57, s57, 0                                  // 0000000048EC: 85398039
	s_add_u32 s60, 0x200, s80                                  // 0000000048F0: 803C50FF 00000200
	s_cmp_lt_u32 s60, s81                                      // 0000000048F8: BF0A513C
	s_cselect_b32 s58, s58, 0                                  // 0000000048FC: 853A803A
	s_add_u32 s20, s57, s20                                    // 000000004900: 80141439
	s_addc_u32 s21, 0, s21                                     // 000000004904: 82151580
	s_add_u32 s24, s58, s24                                    // 000000004908: 8018183A
	s_addc_u32 s25, 0, s25                                     // 00000000490C: 82191980
	s_add_u32 s92, s90, s92                                    // 000000004910: 805C5C5A
	s_addc_u32 s93, 0, s93                                     // 000000004914: 825D5D80
	s_addk_i32 s80, 0x100                                      // 000000004918: B7500100
	s_cmp_lt_i32 s80, s81                                      // 00000000491C: BF045150
	s_cbranch_scc0 label_06CA                                  // 000000004920: BF840001
	s_branch label_0271                                        // 000000004924: BF82FBA7

0000000000004928 <label_06CA>:
	s_mov_b32 s20, 0                                           // 000000004928: BE940080
	s_cmp_lt_u32 s89, s66                                      // 00000000492C: BF0A4259
	s_cselect_b32 s60, 0, 1                                    // 000000004930: 853C8180
	s_lshl1_add_u32 s20, s20, s60                              // 000000004934: 97143C14
	s_cmp_lt_u32 s88, s66                                      // 000000004938: BF0A4258
	s_cselect_b32 s60, 0, 1                                    // 00000000493C: 853C8180
	s_lshl1_add_u32 s20, s20, s60                              // 000000004940: 97143C14
	s_cmp_lt_u32 s87, s66                                      // 000000004944: BF0A4257
	s_cselect_b32 s60, 0, 1                                    // 000000004948: 853C8180
	s_lshl1_add_u32 s20, s20, s60                              // 00000000494C: 97143C14
	s_cmp_lt_u32 s86, s66                                      // 000000004950: BF0A4256
	s_cselect_b32 s60, 0, 1                                    // 000000004954: 853C8180
	s_lshl1_add_u32 s20, s20, s60                              // 000000004958: 97143C14
	s_cmp_lt_u32 s85, s66                                      // 00000000495C: BF0A4255
	s_cselect_b32 s60, 0, 1                                    // 000000004960: 853C8180
	s_lshl1_add_u32 s20, s20, s60                              // 000000004964: 97143C14
	s_cmp_lt_u32 s84, s66                                      // 000000004968: BF0A4254
	s_cselect_b32 s60, 0, 1                                    // 00000000496C: 853C8180
	s_lshl1_add_u32 s20, s20, s60                              // 000000004970: 97143C14
	s_cmp_lt_u32 s83, s66                                      // 000000004974: BF0A4253
	s_cselect_b32 s60, 0, 1                                    // 000000004978: 853C8180
	s_lshl1_add_u32 s20, s20, s60                              // 00000000497C: 97143C14
	s_cmp_lt_u32 s82, s66                                      // 000000004980: BF0A4252
	s_cselect_b32 s60, 0, 1                                    // 000000004984: 853C8180
	s_lshl1_add_u32 s20, s20, s60                              // 000000004988: 97143C14
	v_mul_f32_e32 v128, v14, v128                              // 00000000498C: 0B01010E
	v_mul_f32_e32 v129, v14, v129                              // 000000004990: 0B03030E
	v_mul_f32_e32 v130, v14, v130                              // 000000004994: 0B05050E
	v_mul_f32_e32 v131, v14, v131                              // 000000004998: 0B07070E
	v_mul_f32_dpp v128, v16, v128 row_newbcast:0 row_mask:0xf bank_mask:0xf// 00000000499C: 0B0100FA FF015010
	v_mul_f32_dpp v129, v16, v129 row_newbcast:1 row_mask:0xf bank_mask:0xf// 0000000049A4: 0B0302FA FF015110
	v_mul_f32_dpp v130, v16, v130 row_newbcast:2 row_mask:0xf bank_mask:0xf// 0000000049AC: 0B0504FA FF015210
	v_mul_f32_dpp v131, v16, v131 row_newbcast:3 row_mask:0xf bank_mask:0xf// 0000000049B4: 0B0706FA FF015310
	v_mul_f32_e32 v132, v15, v132                              // 0000000049BC: 0B09090F
	v_mul_f32_e32 v133, v15, v133                              // 0000000049C0: 0B0B0B0F
	v_mul_f32_e32 v134, v15, v134                              // 0000000049C4: 0B0D0D0F
	v_mul_f32_e32 v135, v15, v135                              // 0000000049C8: 0B0F0F0F
	v_mul_f32_dpp v132, v16, v132 row_newbcast:0 row_mask:0xf bank_mask:0xf// 0000000049CC: 0B0908FA FF015010
	v_mul_f32_dpp v133, v16, v133 row_newbcast:1 row_mask:0xf bank_mask:0xf// 0000000049D4: 0B0B0AFA FF015110
	v_mul_f32_dpp v134, v16, v134 row_newbcast:2 row_mask:0xf bank_mask:0xf// 0000000049DC: 0B0D0CFA FF015210
	v_mul_f32_dpp v135, v16, v135 row_newbcast:3 row_mask:0xf bank_mask:0xf// 0000000049E4: 0B0F0EFA FF015310
	v_mul_f32_e32 v136, v14, v136                              // 0000000049EC: 0B11110E
	v_mul_f32_e32 v137, v14, v137                              // 0000000049F0: 0B13130E
	v_mul_f32_e32 v138, v14, v138                              // 0000000049F4: 0B15150E
	v_mul_f32_e32 v139, v14, v139                              // 0000000049F8: 0B17170E
	v_mul_f32_dpp v136, v16, v136 row_newbcast:4 row_mask:0xf bank_mask:0xf// 0000000049FC: 0B1110FA FF015410
	v_mul_f32_dpp v137, v16, v137 row_newbcast:5 row_mask:0xf bank_mask:0xf// 000000004A04: 0B1312FA FF015510
	v_mul_f32_dpp v138, v16, v138 row_newbcast:6 row_mask:0xf bank_mask:0xf// 000000004A0C: 0B1514FA FF015610
	v_mul_f32_dpp v139, v16, v139 row_newbcast:7 row_mask:0xf bank_mask:0xf// 000000004A14: 0B1716FA FF015710
	v_mul_f32_e32 v140, v15, v140                              // 000000004A1C: 0B19190F
	v_mul_f32_e32 v141, v15, v141                              // 000000004A20: 0B1B1B0F
	v_mul_f32_e32 v142, v15, v142                              // 000000004A24: 0B1D1D0F
	v_mul_f32_e32 v143, v15, v143                              // 000000004A28: 0B1F1F0F
	v_mul_f32_dpp v140, v16, v140 row_newbcast:4 row_mask:0xf bank_mask:0xf// 000000004A2C: 0B1918FA FF015410
	v_mul_f32_dpp v141, v16, v141 row_newbcast:5 row_mask:0xf bank_mask:0xf// 000000004A34: 0B1B1AFA FF015510
	v_mul_f32_dpp v142, v16, v142 row_newbcast:6 row_mask:0xf bank_mask:0xf// 000000004A3C: 0B1D1CFA FF015610
	v_mul_f32_dpp v143, v16, v143 row_newbcast:7 row_mask:0xf bank_mask:0xf// 000000004A44: 0B1F1EFA FF015710
	v_mul_f32_e32 v144, v14, v144                              // 000000004A4C: 0B21210E
	v_mul_f32_e32 v145, v14, v145                              // 000000004A50: 0B23230E
	v_mul_f32_e32 v146, v14, v146                              // 000000004A54: 0B25250E
	v_mul_f32_e32 v147, v14, v147                              // 000000004A58: 0B27270E
	v_mul_f32_dpp v144, v16, v144 row_newbcast:8 row_mask:0xf bank_mask:0xf// 000000004A5C: 0B2120FA FF015810
	v_mul_f32_dpp v145, v16, v145 row_newbcast:9 row_mask:0xf bank_mask:0xf// 000000004A64: 0B2322FA FF015910
	v_mul_f32_dpp v146, v16, v146 row_newbcast:10 row_mask:0xf bank_mask:0xf// 000000004A6C: 0B2524FA FF015A10
	v_mul_f32_dpp v147, v16, v147 row_newbcast:11 row_mask:0xf bank_mask:0xf// 000000004A74: 0B2726FA FF015B10
	v_mul_f32_e32 v148, v15, v148                              // 000000004A7C: 0B29290F
	v_mul_f32_e32 v149, v15, v149                              // 000000004A80: 0B2B2B0F
	v_mul_f32_e32 v150, v15, v150                              // 000000004A84: 0B2D2D0F
	v_mul_f32_e32 v151, v15, v151                              // 000000004A88: 0B2F2F0F
	v_mul_f32_dpp v148, v16, v148 row_newbcast:8 row_mask:0xf bank_mask:0xf// 000000004A8C: 0B2928FA FF015810
	v_mul_f32_dpp v149, v16, v149 row_newbcast:9 row_mask:0xf bank_mask:0xf// 000000004A94: 0B2B2AFA FF015910
	v_mul_f32_dpp v150, v16, v150 row_newbcast:10 row_mask:0xf bank_mask:0xf// 000000004A9C: 0B2D2CFA FF015A10
	v_mul_f32_dpp v151, v16, v151 row_newbcast:11 row_mask:0xf bank_mask:0xf// 000000004AA4: 0B2F2EFA FF015B10
	v_mul_f32_e32 v152, v14, v152                              // 000000004AAC: 0B31310E
	v_mul_f32_e32 v153, v14, v153                              // 000000004AB0: 0B33330E
	v_mul_f32_e32 v154, v14, v154                              // 000000004AB4: 0B35350E
	v_mul_f32_e32 v155, v14, v155                              // 000000004AB8: 0B37370E
	v_mul_f32_dpp v152, v16, v152 row_newbcast:12 row_mask:0xf bank_mask:0xf// 000000004ABC: 0B3130FA FF015C10
	v_mul_f32_dpp v153, v16, v153 row_newbcast:13 row_mask:0xf bank_mask:0xf// 000000004AC4: 0B3332FA FF015D10
	v_mul_f32_dpp v154, v16, v154 row_newbcast:14 row_mask:0xf bank_mask:0xf// 000000004ACC: 0B3534FA FF015E10
	v_mul_f32_dpp v155, v16, v155 row_newbcast:15 row_mask:0xf bank_mask:0xf// 000000004AD4: 0B3736FA FF015F10
	v_mul_f32_e32 v156, v15, v156                              // 000000004ADC: 0B39390F
	v_mul_f32_e32 v157, v15, v157                              // 000000004AE0: 0B3B3B0F
	v_mul_f32_e32 v158, v15, v158                              // 000000004AE4: 0B3D3D0F
	v_mul_f32_e32 v159, v15, v159                              // 000000004AE8: 0B3F3F0F
	v_mul_f32_dpp v156, v16, v156 row_newbcast:12 row_mask:0xf bank_mask:0xf// 000000004AEC: 0B3938FA FF015C10
	v_mul_f32_dpp v157, v16, v157 row_newbcast:13 row_mask:0xf bank_mask:0xf// 000000004AF4: 0B3B3AFA FF015D10
	v_mul_f32_dpp v158, v16, v158 row_newbcast:14 row_mask:0xf bank_mask:0xf// 000000004AFC: 0B3D3CFA FF015E10
	v_mul_f32_dpp v159, v16, v159 row_newbcast:15 row_mask:0xf bank_mask:0xf// 000000004B04: 0B3F3EFA FF015F10
	v_mul_f32_e32 v160, v14, v160                              // 000000004B0C: 0B41410E
	v_mul_f32_e32 v161, v14, v161                              // 000000004B10: 0B43430E
	v_mul_f32_e32 v162, v14, v162                              // 000000004B14: 0B45450E
	v_mul_f32_e32 v163, v14, v163                              // 000000004B18: 0B47470E
	v_mul_f32_dpp v160, v17, v160 row_newbcast:0 row_mask:0xf bank_mask:0xf// 000000004B1C: 0B4140FA FF015011
	v_mul_f32_dpp v161, v17, v161 row_newbcast:1 row_mask:0xf bank_mask:0xf// 000000004B24: 0B4342FA FF015111
	v_mul_f32_dpp v162, v17, v162 row_newbcast:2 row_mask:0xf bank_mask:0xf// 000000004B2C: 0B4544FA FF015211
	v_mul_f32_dpp v163, v17, v163 row_newbcast:3 row_mask:0xf bank_mask:0xf// 000000004B34: 0B4746FA FF015311
	v_mul_f32_e32 v164, v15, v164                              // 000000004B3C: 0B49490F
	v_mul_f32_e32 v165, v15, v165                              // 000000004B40: 0B4B4B0F
	v_mul_f32_e32 v166, v15, v166                              // 000000004B44: 0B4D4D0F
	v_mul_f32_e32 v167, v15, v167                              // 000000004B48: 0B4F4F0F
	v_mul_f32_dpp v164, v17, v164 row_newbcast:0 row_mask:0xf bank_mask:0xf// 000000004B4C: 0B4948FA FF015011
	v_mul_f32_dpp v165, v17, v165 row_newbcast:1 row_mask:0xf bank_mask:0xf// 000000004B54: 0B4B4AFA FF015111
	v_mul_f32_dpp v166, v17, v166 row_newbcast:2 row_mask:0xf bank_mask:0xf// 000000004B5C: 0B4D4CFA FF015211
	v_mul_f32_dpp v167, v17, v167 row_newbcast:3 row_mask:0xf bank_mask:0xf// 000000004B64: 0B4F4EFA FF015311
	v_mul_f32_e32 v168, v14, v168                              // 000000004B6C: 0B51510E
	v_mul_f32_e32 v169, v14, v169                              // 000000004B70: 0B53530E
	v_mul_f32_e32 v170, v14, v170                              // 000000004B74: 0B55550E
	v_mul_f32_e32 v171, v14, v171                              // 000000004B78: 0B57570E
	v_mul_f32_dpp v168, v17, v168 row_newbcast:4 row_mask:0xf bank_mask:0xf// 000000004B7C: 0B5150FA FF015411
	v_mul_f32_dpp v169, v17, v169 row_newbcast:5 row_mask:0xf bank_mask:0xf// 000000004B84: 0B5352FA FF015511
	v_mul_f32_dpp v170, v17, v170 row_newbcast:6 row_mask:0xf bank_mask:0xf// 000000004B8C: 0B5554FA FF015611
	v_mul_f32_dpp v171, v17, v171 row_newbcast:7 row_mask:0xf bank_mask:0xf// 000000004B94: 0B5756FA FF015711
	v_mul_f32_e32 v172, v15, v172                              // 000000004B9C: 0B59590F
	v_mul_f32_e32 v173, v15, v173                              // 000000004BA0: 0B5B5B0F
	v_mul_f32_e32 v174, v15, v174                              // 000000004BA4: 0B5D5D0F
	v_mul_f32_e32 v175, v15, v175                              // 000000004BA8: 0B5F5F0F
	v_mul_f32_dpp v172, v17, v172 row_newbcast:4 row_mask:0xf bank_mask:0xf// 000000004BAC: 0B5958FA FF015411
	v_mul_f32_dpp v173, v17, v173 row_newbcast:5 row_mask:0xf bank_mask:0xf// 000000004BB4: 0B5B5AFA FF015511
	v_mul_f32_dpp v174, v17, v174 row_newbcast:6 row_mask:0xf bank_mask:0xf// 000000004BBC: 0B5D5CFA FF015611
	v_mul_f32_dpp v175, v17, v175 row_newbcast:7 row_mask:0xf bank_mask:0xf// 000000004BC4: 0B5F5EFA FF015711
	v_mul_f32_e32 v64, v14, v64                                // 000000004BCC: 0A80810E
	v_mul_f32_e32 v65, v14, v65                                // 000000004BD0: 0A82830E
	v_mul_f32_e32 v66, v14, v66                                // 000000004BD4: 0A84850E
	v_mul_f32_e32 v67, v14, v67                                // 000000004BD8: 0A86870E
	v_mul_f32_dpp v64, v48, v64 row_newbcast:0 row_mask:0xf bank_mask:0xf// 000000004BDC: 0A8080FA FF015030
	v_mul_f32_dpp v65, v48, v65 row_newbcast:1 row_mask:0xf bank_mask:0xf// 000000004BE4: 0A8282FA FF015130
	v_mul_f32_dpp v66, v48, v66 row_newbcast:2 row_mask:0xf bank_mask:0xf// 000000004BEC: 0A8484FA FF015230
	v_mul_f32_dpp v67, v48, v67 row_newbcast:3 row_mask:0xf bank_mask:0xf// 000000004BF4: 0A8686FA FF015330
	v_mul_f32_e32 v68, v15, v68                                // 000000004BFC: 0A88890F
	v_mul_f32_e32 v69, v15, v69                                // 000000004C00: 0A8A8B0F
	v_mul_f32_e32 v70, v15, v70                                // 000000004C04: 0A8C8D0F
	v_mul_f32_e32 v71, v15, v71                                // 000000004C08: 0A8E8F0F
	v_mul_f32_dpp v68, v48, v68 row_newbcast:0 row_mask:0xf bank_mask:0xf// 000000004C0C: 0A8888FA FF015030
	v_mul_f32_dpp v69, v48, v69 row_newbcast:1 row_mask:0xf bank_mask:0xf// 000000004C14: 0A8A8AFA FF015130
	v_mul_f32_dpp v70, v48, v70 row_newbcast:2 row_mask:0xf bank_mask:0xf// 000000004C1C: 0A8C8CFA FF015230
	v_mul_f32_dpp v71, v48, v71 row_newbcast:3 row_mask:0xf bank_mask:0xf// 000000004C24: 0A8E8EFA FF015330
	v_mul_f32_e32 v72, v14, v72                                // 000000004C2C: 0A90910E
	v_mul_f32_e32 v73, v14, v73                                // 000000004C30: 0A92930E
	v_mul_f32_e32 v74, v14, v74                                // 000000004C34: 0A94950E
	v_mul_f32_e32 v75, v14, v75                                // 000000004C38: 0A96970E
	v_mul_f32_dpp v72, v48, v72 row_newbcast:4 row_mask:0xf bank_mask:0xf// 000000004C3C: 0A9090FA FF015430
	v_mul_f32_dpp v73, v48, v73 row_newbcast:5 row_mask:0xf bank_mask:0xf// 000000004C44: 0A9292FA FF015530
	v_mul_f32_dpp v74, v48, v74 row_newbcast:6 row_mask:0xf bank_mask:0xf// 000000004C4C: 0A9494FA FF015630
	v_mul_f32_dpp v75, v48, v75 row_newbcast:7 row_mask:0xf bank_mask:0xf// 000000004C54: 0A9696FA FF015730
	v_mul_f32_e32 v76, v15, v76                                // 000000004C5C: 0A98990F
	v_mul_f32_e32 v77, v15, v77                                // 000000004C60: 0A9A9B0F
	v_mul_f32_e32 v78, v15, v78                                // 000000004C64: 0A9C9D0F
	v_mul_f32_e32 v79, v15, v79                                // 000000004C68: 0A9E9F0F
	v_mul_f32_dpp v76, v48, v76 row_newbcast:4 row_mask:0xf bank_mask:0xf// 000000004C6C: 0A9898FA FF015430
	v_mul_f32_dpp v77, v48, v77 row_newbcast:5 row_mask:0xf bank_mask:0xf// 000000004C74: 0A9A9AFA FF015530
	v_mul_f32_dpp v78, v48, v78 row_newbcast:6 row_mask:0xf bank_mask:0xf// 000000004C7C: 0A9C9CFA FF015630
	v_mul_f32_dpp v79, v48, v79 row_newbcast:7 row_mask:0xf bank_mask:0xf// 000000004C84: 0A9E9EFA FF015730
	v_mul_f32_e32 v80, v14, v80                                // 000000004C8C: 0AA0A10E
	v_mul_f32_e32 v81, v14, v81                                // 000000004C90: 0AA2A30E
	v_mul_f32_e32 v82, v14, v82                                // 000000004C94: 0AA4A50E
	v_mul_f32_e32 v83, v14, v83                                // 000000004C98: 0AA6A70E
	v_mul_f32_dpp v80, v48, v80 row_newbcast:8 row_mask:0xf bank_mask:0xf// 000000004C9C: 0AA0A0FA FF015830
	v_mul_f32_dpp v81, v48, v81 row_newbcast:9 row_mask:0xf bank_mask:0xf// 000000004CA4: 0AA2A2FA FF015930
	v_mul_f32_dpp v82, v48, v82 row_newbcast:10 row_mask:0xf bank_mask:0xf// 000000004CAC: 0AA4A4FA FF015A30
	v_mul_f32_dpp v83, v48, v83 row_newbcast:11 row_mask:0xf bank_mask:0xf// 000000004CB4: 0AA6A6FA FF015B30
	v_mul_f32_e32 v84, v15, v84                                // 000000004CBC: 0AA8A90F
	v_mul_f32_e32 v85, v15, v85                                // 000000004CC0: 0AAAAB0F
	v_mul_f32_e32 v86, v15, v86                                // 000000004CC4: 0AACAD0F
	v_mul_f32_e32 v87, v15, v87                                // 000000004CC8: 0AAEAF0F
	v_mul_f32_dpp v84, v48, v84 row_newbcast:8 row_mask:0xf bank_mask:0xf// 000000004CCC: 0AA8A8FA FF015830
	v_mul_f32_dpp v85, v48, v85 row_newbcast:9 row_mask:0xf bank_mask:0xf// 000000004CD4: 0AAAAAFA FF015930
	v_mul_f32_dpp v86, v48, v86 row_newbcast:10 row_mask:0xf bank_mask:0xf// 000000004CDC: 0AACACFA FF015A30
	v_mul_f32_dpp v87, v48, v87 row_newbcast:11 row_mask:0xf bank_mask:0xf// 000000004CE4: 0AAEAEFA FF015B30
	v_mul_f32_e32 v88, v14, v88                                // 000000004CEC: 0AB0B10E
	v_mul_f32_e32 v89, v14, v89                                // 000000004CF0: 0AB2B30E
	v_mul_f32_e32 v90, v14, v90                                // 000000004CF4: 0AB4B50E
	v_mul_f32_e32 v91, v14, v91                                // 000000004CF8: 0AB6B70E
	v_mul_f32_dpp v88, v48, v88 row_newbcast:12 row_mask:0xf bank_mask:0xf// 000000004CFC: 0AB0B0FA FF015C30
	v_mul_f32_dpp v89, v48, v89 row_newbcast:13 row_mask:0xf bank_mask:0xf// 000000004D04: 0AB2B2FA FF015D30
	v_mul_f32_dpp v90, v48, v90 row_newbcast:14 row_mask:0xf bank_mask:0xf// 000000004D0C: 0AB4B4FA FF015E30
	v_mul_f32_dpp v91, v48, v91 row_newbcast:15 row_mask:0xf bank_mask:0xf// 000000004D14: 0AB6B6FA FF015F30
	v_mul_f32_e32 v92, v15, v92                                // 000000004D1C: 0AB8B90F
	v_mul_f32_e32 v93, v15, v93                                // 000000004D20: 0ABABB0F
	v_mul_f32_e32 v94, v15, v94                                // 000000004D24: 0ABCBD0F
	v_mul_f32_e32 v95, v15, v95                                // 000000004D28: 0ABEBF0F
	v_mul_f32_dpp v92, v48, v92 row_newbcast:12 row_mask:0xf bank_mask:0xf// 000000004D2C: 0AB8B8FA FF015C30
	v_mul_f32_dpp v93, v48, v93 row_newbcast:13 row_mask:0xf bank_mask:0xf// 000000004D34: 0ABABAFA FF015D30
	v_mul_f32_dpp v94, v48, v94 row_newbcast:14 row_mask:0xf bank_mask:0xf// 000000004D3C: 0ABCBCFA FF015E30
	v_mul_f32_dpp v95, v48, v95 row_newbcast:15 row_mask:0xf bank_mask:0xf// 000000004D44: 0ABEBEFA FF015F30
	v_mul_f32_e32 v96, v14, v96                                // 000000004D4C: 0AC0C10E
	v_mul_f32_e32 v97, v14, v97                                // 000000004D50: 0AC2C30E
	v_mul_f32_e32 v98, v14, v98                                // 000000004D54: 0AC4C50E
	v_mul_f32_e32 v99, v14, v99                                // 000000004D58: 0AC6C70E
	v_mul_f32_dpp v96, v49, v96 row_newbcast:0 row_mask:0xf bank_mask:0xf// 000000004D5C: 0AC0C0FA FF015031
	v_mul_f32_dpp v97, v49, v97 row_newbcast:1 row_mask:0xf bank_mask:0xf// 000000004D64: 0AC2C2FA FF015131
	v_mul_f32_dpp v98, v49, v98 row_newbcast:2 row_mask:0xf bank_mask:0xf// 000000004D6C: 0AC4C4FA FF015231
	v_mul_f32_dpp v99, v49, v99 row_newbcast:3 row_mask:0xf bank_mask:0xf// 000000004D74: 0AC6C6FA FF015331
	v_mul_f32_e32 v100, v15, v100                              // 000000004D7C: 0AC8C90F
	v_mul_f32_e32 v101, v15, v101                              // 000000004D80: 0ACACB0F
	v_mul_f32_e32 v102, v15, v102                              // 000000004D84: 0ACCCD0F
	v_mul_f32_e32 v103, v15, v103                              // 000000004D88: 0ACECF0F
	v_mul_f32_dpp v100, v49, v100 row_newbcast:0 row_mask:0xf bank_mask:0xf// 000000004D8C: 0AC8C8FA FF015031
	v_mul_f32_dpp v101, v49, v101 row_newbcast:1 row_mask:0xf bank_mask:0xf// 000000004D94: 0ACACAFA FF015131
	v_mul_f32_dpp v102, v49, v102 row_newbcast:2 row_mask:0xf bank_mask:0xf// 000000004D9C: 0ACCCCFA FF015231
	v_mul_f32_dpp v103, v49, v103 row_newbcast:3 row_mask:0xf bank_mask:0xf// 000000004DA4: 0ACECEFA FF015331
	v_mul_f32_e32 v104, v14, v104                              // 000000004DAC: 0AD0D10E
	v_mul_f32_e32 v105, v14, v105                              // 000000004DB0: 0AD2D30E
	v_mul_f32_e32 v106, v14, v106                              // 000000004DB4: 0AD4D50E
	v_mul_f32_e32 v107, v14, v107                              // 000000004DB8: 0AD6D70E
	v_mul_f32_dpp v104, v49, v104 row_newbcast:4 row_mask:0xf bank_mask:0xf// 000000004DBC: 0AD0D0FA FF015431
	v_mul_f32_dpp v105, v49, v105 row_newbcast:5 row_mask:0xf bank_mask:0xf// 000000004DC4: 0AD2D2FA FF015531
	v_mul_f32_dpp v106, v49, v106 row_newbcast:6 row_mask:0xf bank_mask:0xf// 000000004DCC: 0AD4D4FA FF015631
	v_mul_f32_dpp v107, v49, v107 row_newbcast:7 row_mask:0xf bank_mask:0xf// 000000004DD4: 0AD6D6FA FF015731
	v_mul_f32_e32 v108, v15, v108                              // 000000004DDC: 0AD8D90F
	v_mul_f32_e32 v109, v15, v109                              // 000000004DE0: 0ADADB0F
	v_mul_f32_e32 v110, v15, v110                              // 000000004DE4: 0ADCDD0F
	v_mul_f32_e32 v111, v15, v111                              // 000000004DE8: 0ADEDF0F
	v_mul_f32_dpp v108, v49, v108 row_newbcast:4 row_mask:0xf bank_mask:0xf// 000000004DEC: 0AD8D8FA FF015431
	v_mul_f32_dpp v109, v49, v109 row_newbcast:5 row_mask:0xf bank_mask:0xf// 000000004DF4: 0ADADAFA FF015531
	v_mul_f32_dpp v110, v49, v110 row_newbcast:6 row_mask:0xf bank_mask:0xf// 000000004DFC: 0ADCDCFA FF015631
	v_mul_f32_dpp v111, v49, v111 row_newbcast:7 row_mask:0xf bank_mask:0xf// 000000004E04: 0ADEDEFA FF015731
	s_waitcnt vmcnt(20)                                        // 000000004E0C: BF8C4F74
	buffer_load_dwordx4 a[0:3], v40, s[12:15], 0 offen         // 000000004E10: E05C1000 80830028
	v_mul_f32_e32 v50, v128, v128                              // 000000004E18: 0A650180
	v_mul_f32_e32 v51, v129, v129                              // 000000004E1C: 0A670381
	v_mul_f32_e32 v52, v130, v130                              // 000000004E20: 0A690582
	v_mul_f32_e32 v53, v131, v131                              // 000000004E24: 0A6B0783
	v_fma_f32 v50, v50, s77, v1                                // 000000004E28: D1CB0032 04049B32
	v_fma_f32 v51, v51, s77, v1                                // 000000004E30: D1CB0033 04049B33
	v_fma_f32 v52, v52, s77, v1                                // 000000004E38: D1CB0034 04049B34
	v_fma_f32 v53, v53, s77, v1                                // 000000004E40: D1CB0035 04049B35
	v_mul_f32_e32 v50, v50, v128                               // 000000004E48: 0A650132
	v_mul_f32_e32 v51, v51, v129                               // 000000004E4C: 0A670333
	v_mul_f32_e32 v52, v52, v130                               // 000000004E50: 0A690534
	v_mul_f32_e32 v53, v53, v131                               // 000000004E54: 0A6B0735
	v_mul_f32_e64 v50, v50, s6                                 // 000000004E58: D1050032 00000D32
	v_mul_f32_e64 v51, v51, s6                                 // 000000004E60: D1050033 00000D33
	v_mul_f32_e64 v52, v52, s6                                 // 000000004E68: D1050034 00000D34
	v_mul_f32_e64 v53, v53, s6                                 // 000000004E70: D1050035 00000D35
	v_exp_f32_e32 v50, v50                                     // 000000004E78: 7E644132
	v_exp_f32_e32 v51, v51                                     // 000000004E7C: 7E664133
	v_exp_f32_e32 v52, v52                                     // 000000004E80: 7E684134
	v_exp_f32_e32 v53, v53                                     // 000000004E84: 7E6A4135
	buffer_load_dwordx4 a[4:7], v41, s[12:15], 0 offen         // 000000004E88: E05C1000 80830429
	v_add_f32_e64 v50, v50, 1.0                                // 000000004E90: D1010032 0001E532
	v_add_f32_e64 v51, v51, 1.0                                // 000000004E98: D1010033 0001E533
	v_add_f32_e64 v52, v52, 1.0                                // 000000004EA0: D1010034 0001E534
	v_add_f32_e64 v53, v53, 1.0                                // 000000004EA8: D1010035 0001E535
	v_rcp_f32_e32 v50, v50                                     // 000000004EB0: 7E644532
	v_rcp_f32_e32 v51, v51                                     // 000000004EB4: 7E664533
	v_rcp_f32_e32 v52, v52                                     // 000000004EB8: 7E684534
	v_rcp_f32_e32 v53, v53                                     // 000000004EBC: 7E6A4535
	v_mul_f32_e32 v128, v128, v50                              // 000000004EC0: 0B006580
	v_mul_f32_e32 v129, v129, v51                              // 000000004EC4: 0B026781
	v_mul_f32_e32 v130, v130, v52                              // 000000004EC8: 0B046982
	v_mul_f32_e32 v131, v131, v53                              // 000000004ECC: 0B066B83
	v_mul_f32_e32 v128, v128, v64                              // 000000004ED0: 0B008180
	v_mul_f32_e32 v129, v129, v65                              // 000000004ED4: 0B028381
	v_mul_f32_e32 v130, v130, v66                              // 000000004ED8: 0B048582
	v_mul_f32_e32 v131, v131, v67                              // 000000004EDC: 0B068783
	buffer_load_dwordx4 a[8:11], v42, s[12:15], 0 offen        // 000000004EE0: E05C1000 8083082A
	v_mul_f32_e32 v50, v132, v132                              // 000000004EE8: 0A650984
	v_mul_f32_e32 v51, v133, v133                              // 000000004EEC: 0A670B85
	v_mul_f32_e32 v52, v134, v134                              // 000000004EF0: 0A690D86
	v_mul_f32_e32 v53, v135, v135                              // 000000004EF4: 0A6B0F87
	v_fma_f32 v50, v50, s77, v1                                // 000000004EF8: D1CB0032 04049B32
	v_fma_f32 v51, v51, s77, v1                                // 000000004F00: D1CB0033 04049B33
	v_fma_f32 v52, v52, s77, v1                                // 000000004F08: D1CB0034 04049B34
	v_fma_f32 v53, v53, s77, v1                                // 000000004F10: D1CB0035 04049B35
	v_mul_f32_e32 v50, v50, v132                               // 000000004F18: 0A650932
	v_mul_f32_e32 v51, v51, v133                               // 000000004F1C: 0A670B33
	v_mul_f32_e32 v52, v52, v134                               // 000000004F20: 0A690D34
	v_mul_f32_e32 v53, v53, v135                               // 000000004F24: 0A6B0F35
	v_mul_f32_e64 v50, v50, s6                                 // 000000004F28: D1050032 00000D32
	v_mul_f32_e64 v51, v51, s6                                 // 000000004F30: D1050033 00000D33
	v_mul_f32_e64 v52, v52, s6                                 // 000000004F38: D1050034 00000D34
	v_mul_f32_e64 v53, v53, s6                                 // 000000004F40: D1050035 00000D35
	v_exp_f32_e32 v50, v50                                     // 000000004F48: 7E644132
	v_exp_f32_e32 v51, v51                                     // 000000004F4C: 7E664133
	v_exp_f32_e32 v52, v52                                     // 000000004F50: 7E684134
	v_exp_f32_e32 v53, v53                                     // 000000004F54: 7E6A4135
	buffer_load_dwordx4 a[12:15], v43, s[12:15], 0 offen       // 000000004F58: E05C1000 80830C2B
	s_add_u32 s12, s78, s12                                    // 000000004F60: 800C0C4E
	s_addc_u32 s13, 0, s13                                     // 000000004F64: 820D0D80
	v_add_f32_e64 v50, v50, 1.0                                // 000000004F68: D1010032 0001E532
	v_add_f32_e64 v51, v51, 1.0                                // 000000004F70: D1010033 0001E533
	v_add_f32_e64 v52, v52, 1.0                                // 000000004F78: D1010034 0001E534
	v_add_f32_e64 v53, v53, 1.0                                // 000000004F80: D1010035 0001E535
	v_rcp_f32_e32 v50, v50                                     // 000000004F88: 7E644532
	v_rcp_f32_e32 v51, v51                                     // 000000004F8C: 7E664533
	v_rcp_f32_e32 v52, v52                                     // 000000004F90: 7E684534
	v_rcp_f32_e32 v53, v53                                     // 000000004F94: 7E6A4535
	v_mul_f32_e32 v132, v132, v50                              // 000000004F98: 0B086584
	v_mul_f32_e32 v133, v133, v51                              // 000000004F9C: 0B0A6785
	v_mul_f32_e32 v134, v134, v52                              // 000000004FA0: 0B0C6986
	v_mul_f32_e32 v135, v135, v53                              // 000000004FA4: 0B0E6B87
	v_mul_f32_e32 v132, v132, v68                              // 000000004FA8: 0B088984
	v_mul_f32_e32 v133, v133, v69                              // 000000004FAC: 0B0A8B85
	v_mul_f32_e32 v134, v134, v70                              // 000000004FB0: 0B0C8D86
	v_mul_f32_e32 v135, v135, v71                              // 000000004FB4: 0B0E8F87
	s_waitcnt vmcnt(20)                                        // 000000004FB8: BF8C4F74
	buffer_load_dwordx4 a[16:19], v40, s[12:15], 0 offen       // 000000004FBC: E05C1000 80831028
	v_mul_f32_e32 v50, v136, v136                              // 000000004FC4: 0A651188
	v_mul_f32_e32 v51, v137, v137                              // 000000004FC8: 0A671389
	v_mul_f32_e32 v52, v138, v138                              // 000000004FCC: 0A69158A
	v_mul_f32_e32 v53, v139, v139                              // 000000004FD0: 0A6B178B
	v_fma_f32 v50, v50, s77, v1                                // 000000004FD4: D1CB0032 04049B32
	v_fma_f32 v51, v51, s77, v1                                // 000000004FDC: D1CB0033 04049B33
	v_fma_f32 v52, v52, s77, v1                                // 000000004FE4: D1CB0034 04049B34
	v_fma_f32 v53, v53, s77, v1                                // 000000004FEC: D1CB0035 04049B35
	v_mul_f32_e32 v50, v50, v136                               // 000000004FF4: 0A651132
	v_mul_f32_e32 v51, v51, v137                               // 000000004FF8: 0A671333
	v_mul_f32_e32 v52, v52, v138                               // 000000004FFC: 0A691534
	v_mul_f32_e32 v53, v53, v139                               // 000000005000: 0A6B1735
	v_mul_f32_e64 v50, v50, s6                                 // 000000005004: D1050032 00000D32
	v_mul_f32_e64 v51, v51, s6                                 // 00000000500C: D1050033 00000D33
	v_mul_f32_e64 v52, v52, s6                                 // 000000005014: D1050034 00000D34
	v_mul_f32_e64 v53, v53, s6                                 // 00000000501C: D1050035 00000D35
	v_exp_f32_e32 v50, v50                                     // 000000005024: 7E644132
	v_exp_f32_e32 v51, v51                                     // 000000005028: 7E664133
	v_exp_f32_e32 v52, v52                                     // 00000000502C: 7E684134
	v_exp_f32_e32 v53, v53                                     // 000000005030: 7E6A4135
	buffer_load_dwordx4 a[20:23], v41, s[12:15], 0 offen       // 000000005034: E05C1000 80831429
	v_add_f32_e64 v50, v50, 1.0                                // 00000000503C: D1010032 0001E532
	v_add_f32_e64 v51, v51, 1.0                                // 000000005044: D1010033 0001E533
	v_add_f32_e64 v52, v52, 1.0                                // 00000000504C: D1010034 0001E534
	v_add_f32_e64 v53, v53, 1.0                                // 000000005054: D1010035 0001E535
	v_rcp_f32_e32 v50, v50                                     // 00000000505C: 7E644532
	v_rcp_f32_e32 v51, v51                                     // 000000005060: 7E664533
	v_rcp_f32_e32 v52, v52                                     // 000000005064: 7E684534
	v_rcp_f32_e32 v53, v53                                     // 000000005068: 7E6A4535
	v_mul_f32_e32 v136, v136, v50                              // 00000000506C: 0B106588
	v_mul_f32_e32 v137, v137, v51                              // 000000005070: 0B126789
	v_mul_f32_e32 v138, v138, v52                              // 000000005074: 0B14698A
	v_mul_f32_e32 v139, v139, v53                              // 000000005078: 0B166B8B
	v_mul_f32_e32 v136, v136, v72                              // 00000000507C: 0B109188
	v_mul_f32_e32 v137, v137, v73                              // 000000005080: 0B129389
	v_mul_f32_e32 v138, v138, v74                              // 000000005084: 0B14958A
	v_mul_f32_e32 v139, v139, v75                              // 000000005088: 0B16978B
	buffer_load_dwordx4 a[24:27], v42, s[12:15], 0 offen       // 00000000508C: E05C1000 8083182A
	v_mul_f32_e32 v50, v140, v140                              // 000000005094: 0A65198C
	v_mul_f32_e32 v51, v141, v141                              // 000000005098: 0A671B8D
	v_mul_f32_e32 v52, v142, v142                              // 00000000509C: 0A691D8E
	v_mul_f32_e32 v53, v143, v143                              // 0000000050A0: 0A6B1F8F
	v_fma_f32 v50, v50, s77, v1                                // 0000000050A4: D1CB0032 04049B32
	v_fma_f32 v51, v51, s77, v1                                // 0000000050AC: D1CB0033 04049B33
	v_fma_f32 v52, v52, s77, v1                                // 0000000050B4: D1CB0034 04049B34
	v_fma_f32 v53, v53, s77, v1                                // 0000000050BC: D1CB0035 04049B35
	v_mul_f32_e32 v50, v50, v140                               // 0000000050C4: 0A651932
	v_mul_f32_e32 v51, v51, v141                               // 0000000050C8: 0A671B33
	v_mul_f32_e32 v52, v52, v142                               // 0000000050CC: 0A691D34
	v_mul_f32_e32 v53, v53, v143                               // 0000000050D0: 0A6B1F35
	v_mul_f32_e64 v50, v50, s6                                 // 0000000050D4: D1050032 00000D32
	v_mul_f32_e64 v51, v51, s6                                 // 0000000050DC: D1050033 00000D33
	v_mul_f32_e64 v52, v52, s6                                 // 0000000050E4: D1050034 00000D34
	v_mul_f32_e64 v53, v53, s6                                 // 0000000050EC: D1050035 00000D35
	v_exp_f32_e32 v50, v50                                     // 0000000050F4: 7E644132
	v_exp_f32_e32 v51, v51                                     // 0000000050F8: 7E664133
	v_exp_f32_e32 v52, v52                                     // 0000000050FC: 7E684134
	v_exp_f32_e32 v53, v53                                     // 000000005100: 7E6A4135
	buffer_load_dwordx4 a[28:31], v43, s[12:15], 0 offen       // 000000005104: E05C1000 80831C2B
	s_add_u32 s12, s78, s12                                    // 00000000510C: 800C0C4E
	s_addc_u32 s13, 0, s13                                     // 000000005110: 820D0D80
	v_add_f32_e64 v50, v50, 1.0                                // 000000005114: D1010032 0001E532
	v_add_f32_e64 v51, v51, 1.0                                // 00000000511C: D1010033 0001E533
	v_add_f32_e64 v52, v52, 1.0                                // 000000005124: D1010034 0001E534
	v_add_f32_e64 v53, v53, 1.0                                // 00000000512C: D1010035 0001E535
	v_rcp_f32_e32 v50, v50                                     // 000000005134: 7E644532
	v_rcp_f32_e32 v51, v51                                     // 000000005138: 7E664533
	v_rcp_f32_e32 v52, v52                                     // 00000000513C: 7E684534
	v_rcp_f32_e32 v53, v53                                     // 000000005140: 7E6A4535
	v_mul_f32_e32 v140, v140, v50                              // 000000005144: 0B18658C
	v_mul_f32_e32 v141, v141, v51                              // 000000005148: 0B1A678D
	v_mul_f32_e32 v142, v142, v52                              // 00000000514C: 0B1C698E
	v_mul_f32_e32 v143, v143, v53                              // 000000005150: 0B1E6B8F
	v_mul_f32_e32 v140, v140, v76                              // 000000005154: 0B18998C
	v_mul_f32_e32 v141, v141, v77                              // 000000005158: 0B1A9B8D
	v_mul_f32_e32 v142, v142, v78                              // 00000000515C: 0B1C9D8E
	v_mul_f32_e32 v143, v143, v79                              // 000000005160: 0B1E9F8F
	s_waitcnt vmcnt(20)                                        // 000000005164: BF8C4F74
	buffer_load_dwordx4 a[32:35], v40, s[12:15], 0 offen       // 000000005168: E05C1000 80832028
	v_mul_f32_e32 v50, v144, v144                              // 000000005170: 0A652190
	v_mul_f32_e32 v51, v145, v145                              // 000000005174: 0A672391
	v_mul_f32_e32 v52, v146, v146                              // 000000005178: 0A692592
	v_mul_f32_e32 v53, v147, v147                              // 00000000517C: 0A6B2793
	v_fma_f32 v50, v50, s77, v1                                // 000000005180: D1CB0032 04049B32
	v_fma_f32 v51, v51, s77, v1                                // 000000005188: D1CB0033 04049B33
	v_fma_f32 v52, v52, s77, v1                                // 000000005190: D1CB0034 04049B34
	v_fma_f32 v53, v53, s77, v1                                // 000000005198: D1CB0035 04049B35
	v_mul_f32_e32 v50, v50, v144                               // 0000000051A0: 0A652132
	v_mul_f32_e32 v51, v51, v145                               // 0000000051A4: 0A672333
	v_mul_f32_e32 v52, v52, v146                               // 0000000051A8: 0A692534
	v_mul_f32_e32 v53, v53, v147                               // 0000000051AC: 0A6B2735
	v_mul_f32_e64 v50, v50, s6                                 // 0000000051B0: D1050032 00000D32
	v_mul_f32_e64 v51, v51, s6                                 // 0000000051B8: D1050033 00000D33
	v_mul_f32_e64 v52, v52, s6                                 // 0000000051C0: D1050034 00000D34
	v_mul_f32_e64 v53, v53, s6                                 // 0000000051C8: D1050035 00000D35
	v_exp_f32_e32 v50, v50                                     // 0000000051D0: 7E644132
	v_exp_f32_e32 v51, v51                                     // 0000000051D4: 7E664133
	v_exp_f32_e32 v52, v52                                     // 0000000051D8: 7E684134
	v_exp_f32_e32 v53, v53                                     // 0000000051DC: 7E6A4135
	buffer_load_dwordx4 a[36:39], v41, s[12:15], 0 offen       // 0000000051E0: E05C1000 80832429
	v_add_f32_e64 v50, v50, 1.0                                // 0000000051E8: D1010032 0001E532
	v_add_f32_e64 v51, v51, 1.0                                // 0000000051F0: D1010033 0001E533
	v_add_f32_e64 v52, v52, 1.0                                // 0000000051F8: D1010034 0001E534
	v_add_f32_e64 v53, v53, 1.0                                // 000000005200: D1010035 0001E535
	v_rcp_f32_e32 v50, v50                                     // 000000005208: 7E644532
	v_rcp_f32_e32 v51, v51                                     // 00000000520C: 7E664533
	v_rcp_f32_e32 v52, v52                                     // 000000005210: 7E684534
	v_rcp_f32_e32 v53, v53                                     // 000000005214: 7E6A4535
	v_mul_f32_e32 v144, v144, v50                              // 000000005218: 0B206590
	v_mul_f32_e32 v145, v145, v51                              // 00000000521C: 0B226791
	v_mul_f32_e32 v146, v146, v52                              // 000000005220: 0B246992
	v_mul_f32_e32 v147, v147, v53                              // 000000005224: 0B266B93
	v_mul_f32_e32 v144, v144, v80                              // 000000005228: 0B20A190
	v_mul_f32_e32 v145, v145, v81                              // 00000000522C: 0B22A391
	v_mul_f32_e32 v146, v146, v82                              // 000000005230: 0B24A592
	v_mul_f32_e32 v147, v147, v83                              // 000000005234: 0B26A793
	buffer_load_dwordx4 a[40:43], v42, s[12:15], 0 offen       // 000000005238: E05C1000 8083282A
	v_mul_f32_e32 v50, v148, v148                              // 000000005240: 0A652994
	v_mul_f32_e32 v51, v149, v149                              // 000000005244: 0A672B95
	v_mul_f32_e32 v52, v150, v150                              // 000000005248: 0A692D96
	v_mul_f32_e32 v53, v151, v151                              // 00000000524C: 0A6B2F97
	v_fma_f32 v50, v50, s77, v1                                // 000000005250: D1CB0032 04049B32
	v_fma_f32 v51, v51, s77, v1                                // 000000005258: D1CB0033 04049B33
	v_fma_f32 v52, v52, s77, v1                                // 000000005260: D1CB0034 04049B34
	v_fma_f32 v53, v53, s77, v1                                // 000000005268: D1CB0035 04049B35
	v_mul_f32_e32 v50, v50, v148                               // 000000005270: 0A652932
	v_mul_f32_e32 v51, v51, v149                               // 000000005274: 0A672B33
	v_mul_f32_e32 v52, v52, v150                               // 000000005278: 0A692D34
	v_mul_f32_e32 v53, v53, v151                               // 00000000527C: 0A6B2F35
	v_mul_f32_e64 v50, v50, s6                                 // 000000005280: D1050032 00000D32
	v_mul_f32_e64 v51, v51, s6                                 // 000000005288: D1050033 00000D33
	v_mul_f32_e64 v52, v52, s6                                 // 000000005290: D1050034 00000D34
	v_mul_f32_e64 v53, v53, s6                                 // 000000005298: D1050035 00000D35
	v_exp_f32_e32 v50, v50                                     // 0000000052A0: 7E644132
	v_exp_f32_e32 v51, v51                                     // 0000000052A4: 7E664133
	v_exp_f32_e32 v52, v52                                     // 0000000052A8: 7E684134
	v_exp_f32_e32 v53, v53                                     // 0000000052AC: 7E6A4135
	buffer_load_dwordx4 a[44:47], v43, s[12:15], 0 offen       // 0000000052B0: E05C1000 80832C2B
	s_add_u32 s12, s78, s12                                    // 0000000052B8: 800C0C4E
	s_addc_u32 s13, 0, s13                                     // 0000000052BC: 820D0D80
	v_add_f32_e64 v50, v50, 1.0                                // 0000000052C0: D1010032 0001E532
	v_add_f32_e64 v51, v51, 1.0                                // 0000000052C8: D1010033 0001E533
	v_add_f32_e64 v52, v52, 1.0                                // 0000000052D0: D1010034 0001E534
	v_add_f32_e64 v53, v53, 1.0                                // 0000000052D8: D1010035 0001E535
	v_rcp_f32_e32 v50, v50                                     // 0000000052E0: 7E644532
	v_rcp_f32_e32 v51, v51                                     // 0000000052E4: 7E664533
	v_rcp_f32_e32 v52, v52                                     // 0000000052E8: 7E684534
	v_rcp_f32_e32 v53, v53                                     // 0000000052EC: 7E6A4535
	v_mul_f32_e32 v148, v148, v50                              // 0000000052F0: 0B286594
	v_mul_f32_e32 v149, v149, v51                              // 0000000052F4: 0B2A6795
	v_mul_f32_e32 v150, v150, v52                              // 0000000052F8: 0B2C6996
	v_mul_f32_e32 v151, v151, v53                              // 0000000052FC: 0B2E6B97
	v_mul_f32_e32 v148, v148, v84                              // 000000005300: 0B28A994
	v_mul_f32_e32 v149, v149, v85                              // 000000005304: 0B2AAB95
	v_mul_f32_e32 v150, v150, v86                              // 000000005308: 0B2CAD96
	v_mul_f32_e32 v151, v151, v87                              // 00000000530C: 0B2EAF97
	s_waitcnt vmcnt(20)                                        // 000000005310: BF8C4F74
	buffer_load_dwordx4 a[48:51], v40, s[12:15], 0 offen       // 000000005314: E05C1000 80833028
	v_mul_f32_e32 v50, v152, v152                              // 00000000531C: 0A653198
	v_mul_f32_e32 v51, v153, v153                              // 000000005320: 0A673399
	v_mul_f32_e32 v52, v154, v154                              // 000000005324: 0A69359A
	v_mul_f32_e32 v53, v155, v155                              // 000000005328: 0A6B379B
	v_fma_f32 v50, v50, s77, v1                                // 00000000532C: D1CB0032 04049B32
	v_fma_f32 v51, v51, s77, v1                                // 000000005334: D1CB0033 04049B33
	v_fma_f32 v52, v52, s77, v1                                // 00000000533C: D1CB0034 04049B34
	v_fma_f32 v53, v53, s77, v1                                // 000000005344: D1CB0035 04049B35
	v_mul_f32_e32 v50, v50, v152                               // 00000000534C: 0A653132
	v_mul_f32_e32 v51, v51, v153                               // 000000005350: 0A673333
	v_mul_f32_e32 v52, v52, v154                               // 000000005354: 0A693534
	v_mul_f32_e32 v53, v53, v155                               // 000000005358: 0A6B3735
	v_mul_f32_e64 v50, v50, s6                                 // 00000000535C: D1050032 00000D32
	v_mul_f32_e64 v51, v51, s6                                 // 000000005364: D1050033 00000D33
	v_mul_f32_e64 v52, v52, s6                                 // 00000000536C: D1050034 00000D34
	v_mul_f32_e64 v53, v53, s6                                 // 000000005374: D1050035 00000D35
	v_exp_f32_e32 v50, v50                                     // 00000000537C: 7E644132
	v_exp_f32_e32 v51, v51                                     // 000000005380: 7E664133
	v_exp_f32_e32 v52, v52                                     // 000000005384: 7E684134
	v_exp_f32_e32 v53, v53                                     // 000000005388: 7E6A4135
	buffer_load_dwordx4 a[52:55], v41, s[12:15], 0 offen       // 00000000538C: E05C1000 80833429
	v_add_f32_e64 v50, v50, 1.0                                // 000000005394: D1010032 0001E532
	v_add_f32_e64 v51, v51, 1.0                                // 00000000539C: D1010033 0001E533
	v_add_f32_e64 v52, v52, 1.0                                // 0000000053A4: D1010034 0001E534
	v_add_f32_e64 v53, v53, 1.0                                // 0000000053AC: D1010035 0001E535
	v_rcp_f32_e32 v50, v50                                     // 0000000053B4: 7E644532
	v_rcp_f32_e32 v51, v51                                     // 0000000053B8: 7E664533
	v_rcp_f32_e32 v52, v52                                     // 0000000053BC: 7E684534
	v_rcp_f32_e32 v53, v53                                     // 0000000053C0: 7E6A4535
	v_mul_f32_e32 v152, v152, v50                              // 0000000053C4: 0B306598
	v_mul_f32_e32 v153, v153, v51                              // 0000000053C8: 0B326799
	v_mul_f32_e32 v154, v154, v52                              // 0000000053CC: 0B34699A
	v_mul_f32_e32 v155, v155, v53                              // 0000000053D0: 0B366B9B
	v_mul_f32_e32 v152, v152, v88                              // 0000000053D4: 0B30B198
	v_mul_f32_e32 v153, v153, v89                              // 0000000053D8: 0B32B399
	v_mul_f32_e32 v154, v154, v90                              // 0000000053DC: 0B34B59A
	v_mul_f32_e32 v155, v155, v91                              // 0000000053E0: 0B36B79B
	buffer_load_dwordx4 a[56:59], v42, s[12:15], 0 offen       // 0000000053E4: E05C1000 8083382A
	v_mul_f32_e32 v50, v156, v156                              // 0000000053EC: 0A65399C
	v_mul_f32_e32 v51, v157, v157                              // 0000000053F0: 0A673B9D
	v_mul_f32_e32 v52, v158, v158                              // 0000000053F4: 0A693D9E
	v_mul_f32_e32 v53, v159, v159                              // 0000000053F8: 0A6B3F9F
	v_fma_f32 v50, v50, s77, v1                                // 0000000053FC: D1CB0032 04049B32
	v_fma_f32 v51, v51, s77, v1                                // 000000005404: D1CB0033 04049B33
	v_fma_f32 v52, v52, s77, v1                                // 00000000540C: D1CB0034 04049B34
	v_fma_f32 v53, v53, s77, v1                                // 000000005414: D1CB0035 04049B35
	v_mul_f32_e32 v50, v50, v156                               // 00000000541C: 0A653932
	v_mul_f32_e32 v51, v51, v157                               // 000000005420: 0A673B33
	v_mul_f32_e32 v52, v52, v158                               // 000000005424: 0A693D34
	v_mul_f32_e32 v53, v53, v159                               // 000000005428: 0A6B3F35
	v_mul_f32_e64 v50, v50, s6                                 // 00000000542C: D1050032 00000D32
	v_mul_f32_e64 v51, v51, s6                                 // 000000005434: D1050033 00000D33
	v_mul_f32_e64 v52, v52, s6                                 // 00000000543C: D1050034 00000D34
	v_mul_f32_e64 v53, v53, s6                                 // 000000005444: D1050035 00000D35
	v_exp_f32_e32 v50, v50                                     // 00000000544C: 7E644132
	v_exp_f32_e32 v51, v51                                     // 000000005450: 7E664133
	v_exp_f32_e32 v52, v52                                     // 000000005454: 7E684134
	v_exp_f32_e32 v53, v53                                     // 000000005458: 7E6A4135
	buffer_load_dwordx4 a[60:63], v43, s[12:15], 0 offen       // 00000000545C: E05C1000 80833C2B
	s_add_u32 s12, s78, s12                                    // 000000005464: 800C0C4E
	s_addc_u32 s13, 0, s13                                     // 000000005468: 820D0D80
	v_add_f32_e64 v50, v50, 1.0                                // 00000000546C: D1010032 0001E532
	v_add_f32_e64 v51, v51, 1.0                                // 000000005474: D1010033 0001E533
	v_add_f32_e64 v52, v52, 1.0                                // 00000000547C: D1010034 0001E534
	v_add_f32_e64 v53, v53, 1.0                                // 000000005484: D1010035 0001E535
	v_rcp_f32_e32 v50, v50                                     // 00000000548C: 7E644532
	v_rcp_f32_e32 v51, v51                                     // 000000005490: 7E664533
	v_rcp_f32_e32 v52, v52                                     // 000000005494: 7E684534
	v_rcp_f32_e32 v53, v53                                     // 000000005498: 7E6A4535
	v_mul_f32_e32 v156, v156, v50                              // 00000000549C: 0B38659C
	v_mul_f32_e32 v157, v157, v51                              // 0000000054A0: 0B3A679D
	v_mul_f32_e32 v158, v158, v52                              // 0000000054A4: 0B3C699E
	v_mul_f32_e32 v159, v159, v53                              // 0000000054A8: 0B3E6B9F
	v_mul_f32_e32 v156, v156, v92                              // 0000000054AC: 0B38B99C
	v_mul_f32_e32 v157, v157, v93                              // 0000000054B0: 0B3ABB9D
	v_mul_f32_e32 v158, v158, v94                              // 0000000054B4: 0B3CBD9E
	v_mul_f32_e32 v159, v159, v95                              // 0000000054B8: 0B3EBF9F
	s_waitcnt vmcnt(20)                                        // 0000000054BC: BF8C4F74
	buffer_load_dwordx4 a[64:67], v40, s[12:15], 0 offen       // 0000000054C0: E05C1000 80834028
	v_mul_f32_e32 v50, v160, v160                              // 0000000054C8: 0A6541A0
	v_mul_f32_e32 v51, v161, v161                              // 0000000054CC: 0A6743A1
	v_mul_f32_e32 v52, v162, v162                              // 0000000054D0: 0A6945A2
	v_mul_f32_e32 v53, v163, v163                              // 0000000054D4: 0A6B47A3
	v_fma_f32 v50, v50, s77, v1                                // 0000000054D8: D1CB0032 04049B32
	v_fma_f32 v51, v51, s77, v1                                // 0000000054E0: D1CB0033 04049B33
	v_fma_f32 v52, v52, s77, v1                                // 0000000054E8: D1CB0034 04049B34
	v_fma_f32 v53, v53, s77, v1                                // 0000000054F0: D1CB0035 04049B35
	v_mul_f32_e32 v50, v50, v160                               // 0000000054F8: 0A654132
	v_mul_f32_e32 v51, v51, v161                               // 0000000054FC: 0A674333
	v_mul_f32_e32 v52, v52, v162                               // 000000005500: 0A694534
	v_mul_f32_e32 v53, v53, v163                               // 000000005504: 0A6B4735
	v_mul_f32_e64 v50, v50, s6                                 // 000000005508: D1050032 00000D32
	v_mul_f32_e64 v51, v51, s6                                 // 000000005510: D1050033 00000D33
	v_mul_f32_e64 v52, v52, s6                                 // 000000005518: D1050034 00000D34
	v_mul_f32_e64 v53, v53, s6                                 // 000000005520: D1050035 00000D35
	v_exp_f32_e32 v50, v50                                     // 000000005528: 7E644132
	v_exp_f32_e32 v51, v51                                     // 00000000552C: 7E664133
	v_exp_f32_e32 v52, v52                                     // 000000005530: 7E684134
	v_exp_f32_e32 v53, v53                                     // 000000005534: 7E6A4135
	buffer_load_dwordx4 a[68:71], v41, s[12:15], 0 offen       // 000000005538: E05C1000 80834429
	v_add_f32_e64 v50, v50, 1.0                                // 000000005540: D1010032 0001E532
	v_add_f32_e64 v51, v51, 1.0                                // 000000005548: D1010033 0001E533
	v_add_f32_e64 v52, v52, 1.0                                // 000000005550: D1010034 0001E534
	v_add_f32_e64 v53, v53, 1.0                                // 000000005558: D1010035 0001E535
	v_rcp_f32_e32 v50, v50                                     // 000000005560: 7E644532
	v_rcp_f32_e32 v51, v51                                     // 000000005564: 7E664533
	v_rcp_f32_e32 v52, v52                                     // 000000005568: 7E684534
	v_rcp_f32_e32 v53, v53                                     // 00000000556C: 7E6A4535
	v_mul_f32_e32 v160, v160, v50                              // 000000005570: 0B4065A0
	v_mul_f32_e32 v161, v161, v51                              // 000000005574: 0B4267A1
	v_mul_f32_e32 v162, v162, v52                              // 000000005578: 0B4469A2
	v_mul_f32_e32 v163, v163, v53                              // 00000000557C: 0B466BA3
	v_mul_f32_e32 v160, v160, v96                              // 000000005580: 0B40C1A0
	v_mul_f32_e32 v161, v161, v97                              // 000000005584: 0B42C3A1
	v_mul_f32_e32 v162, v162, v98                              // 000000005588: 0B44C5A2
	v_mul_f32_e32 v163, v163, v99                              // 00000000558C: 0B46C7A3
	buffer_load_dwordx4 a[72:75], v42, s[12:15], 0 offen       // 000000005590: E05C1000 8083482A
	v_mul_f32_e32 v50, v164, v164                              // 000000005598: 0A6549A4
	v_mul_f32_e32 v51, v165, v165                              // 00000000559C: 0A674BA5
	v_mul_f32_e32 v52, v166, v166                              // 0000000055A0: 0A694DA6
	v_mul_f32_e32 v53, v167, v167                              // 0000000055A4: 0A6B4FA7
	v_fma_f32 v50, v50, s77, v1                                // 0000000055A8: D1CB0032 04049B32
	v_fma_f32 v51, v51, s77, v1                                // 0000000055B0: D1CB0033 04049B33
	v_fma_f32 v52, v52, s77, v1                                // 0000000055B8: D1CB0034 04049B34
	v_fma_f32 v53, v53, s77, v1                                // 0000000055C0: D1CB0035 04049B35
	v_mul_f32_e32 v50, v50, v164                               // 0000000055C8: 0A654932
	v_mul_f32_e32 v51, v51, v165                               // 0000000055CC: 0A674B33
	v_mul_f32_e32 v52, v52, v166                               // 0000000055D0: 0A694D34
	v_mul_f32_e32 v53, v53, v167                               // 0000000055D4: 0A6B4F35
	v_mul_f32_e64 v50, v50, s6                                 // 0000000055D8: D1050032 00000D32
	v_mul_f32_e64 v51, v51, s6                                 // 0000000055E0: D1050033 00000D33
	v_mul_f32_e64 v52, v52, s6                                 // 0000000055E8: D1050034 00000D34
	v_mul_f32_e64 v53, v53, s6                                 // 0000000055F0: D1050035 00000D35
	v_exp_f32_e32 v50, v50                                     // 0000000055F8: 7E644132
	v_exp_f32_e32 v51, v51                                     // 0000000055FC: 7E664133
	v_exp_f32_e32 v52, v52                                     // 000000005600: 7E684134
	v_exp_f32_e32 v53, v53                                     // 000000005604: 7E6A4135
	buffer_load_dwordx4 a[76:79], v43, s[12:15], 0 offen       // 000000005608: E05C1000 80834C2B
	s_add_u32 s12, s78, s12                                    // 000000005610: 800C0C4E
	s_addc_u32 s13, 0, s13                                     // 000000005614: 820D0D80
	v_add_f32_e64 v50, v50, 1.0                                // 000000005618: D1010032 0001E532
	v_add_f32_e64 v51, v51, 1.0                                // 000000005620: D1010033 0001E533
	v_add_f32_e64 v52, v52, 1.0                                // 000000005628: D1010034 0001E534
	v_add_f32_e64 v53, v53, 1.0                                // 000000005630: D1010035 0001E535
	v_rcp_f32_e32 v50, v50                                     // 000000005638: 7E644532
	v_rcp_f32_e32 v51, v51                                     // 00000000563C: 7E664533
	v_rcp_f32_e32 v52, v52                                     // 000000005640: 7E684534
	v_rcp_f32_e32 v53, v53                                     // 000000005644: 7E6A4535
	v_mul_f32_e32 v164, v164, v50                              // 000000005648: 0B4865A4
	v_mul_f32_e32 v165, v165, v51                              // 00000000564C: 0B4A67A5
	v_mul_f32_e32 v166, v166, v52                              // 000000005650: 0B4C69A6
	v_mul_f32_e32 v167, v167, v53                              // 000000005654: 0B4E6BA7
	v_mul_f32_e32 v164, v164, v100                             // 000000005658: 0B48C9A4
	v_mul_f32_e32 v165, v165, v101                             // 00000000565C: 0B4ACBA5
	v_mul_f32_e32 v166, v166, v102                             // 000000005660: 0B4CCDA6
	v_mul_f32_e32 v167, v167, v103                             // 000000005664: 0B4ECFA7
	s_waitcnt vmcnt(20)                                        // 000000005668: BF8C4F74
	buffer_load_dwordx4 a[80:83], v40, s[12:15], 0 offen       // 00000000566C: E05C1000 80835028
	v_mul_f32_e32 v50, v168, v168                              // 000000005674: 0A6551A8
	v_mul_f32_e32 v51, v169, v169                              // 000000005678: 0A6753A9
	v_mul_f32_e32 v52, v170, v170                              // 00000000567C: 0A6955AA
	v_mul_f32_e32 v53, v171, v171                              // 000000005680: 0A6B57AB
	v_fma_f32 v50, v50, s77, v1                                // 000000005684: D1CB0032 04049B32
	v_fma_f32 v51, v51, s77, v1                                // 00000000568C: D1CB0033 04049B33
	v_fma_f32 v52, v52, s77, v1                                // 000000005694: D1CB0034 04049B34
	v_fma_f32 v53, v53, s77, v1                                // 00000000569C: D1CB0035 04049B35
	v_mul_f32_e32 v50, v50, v168                               // 0000000056A4: 0A655132
	v_mul_f32_e32 v51, v51, v169                               // 0000000056A8: 0A675333
	v_mul_f32_e32 v52, v52, v170                               // 0000000056AC: 0A695534
	v_mul_f32_e32 v53, v53, v171                               // 0000000056B0: 0A6B5735
	v_mul_f32_e64 v50, v50, s6                                 // 0000000056B4: D1050032 00000D32
	v_mul_f32_e64 v51, v51, s6                                 // 0000000056BC: D1050033 00000D33
	v_mul_f32_e64 v52, v52, s6                                 // 0000000056C4: D1050034 00000D34
	v_mul_f32_e64 v53, v53, s6                                 // 0000000056CC: D1050035 00000D35
	v_exp_f32_e32 v50, v50                                     // 0000000056D4: 7E644132
	v_exp_f32_e32 v51, v51                                     // 0000000056D8: 7E664133
	v_exp_f32_e32 v52, v52                                     // 0000000056DC: 7E684134
	v_exp_f32_e32 v53, v53                                     // 0000000056E0: 7E6A4135
	buffer_load_dwordx4 a[84:87], v41, s[12:15], 0 offen       // 0000000056E4: E05C1000 80835429
	v_add_f32_e64 v50, v50, 1.0                                // 0000000056EC: D1010032 0001E532
	v_add_f32_e64 v51, v51, 1.0                                // 0000000056F4: D1010033 0001E533
	v_add_f32_e64 v52, v52, 1.0                                // 0000000056FC: D1010034 0001E534
	v_add_f32_e64 v53, v53, 1.0                                // 000000005704: D1010035 0001E535
	v_rcp_f32_e32 v50, v50                                     // 00000000570C: 7E644532
	v_rcp_f32_e32 v51, v51                                     // 000000005710: 7E664533
	v_rcp_f32_e32 v52, v52                                     // 000000005714: 7E684534
	v_rcp_f32_e32 v53, v53                                     // 000000005718: 7E6A4535
	v_mul_f32_e32 v168, v168, v50                              // 00000000571C: 0B5065A8
	v_mul_f32_e32 v169, v169, v51                              // 000000005720: 0B5267A9
	v_mul_f32_e32 v170, v170, v52                              // 000000005724: 0B5469AA
	v_mul_f32_e32 v171, v171, v53                              // 000000005728: 0B566BAB
	v_mul_f32_e32 v168, v168, v104                             // 00000000572C: 0B50D1A8
	v_mul_f32_e32 v169, v169, v105                             // 000000005730: 0B52D3A9
	v_mul_f32_e32 v170, v170, v106                             // 000000005734: 0B54D5AA
	v_mul_f32_e32 v171, v171, v107                             // 000000005738: 0B56D7AB
	buffer_load_dwordx4 a[88:91], v42, s[12:15], 0 offen       // 00000000573C: E05C1000 8083582A
	v_mul_f32_e32 v50, v172, v172                              // 000000005744: 0A6559AC
	v_mul_f32_e32 v51, v173, v173                              // 000000005748: 0A675BAD
	v_mul_f32_e32 v52, v174, v174                              // 00000000574C: 0A695DAE
	v_mul_f32_e32 v53, v175, v175                              // 000000005750: 0A6B5FAF
	v_fma_f32 v50, v50, s77, v1                                // 000000005754: D1CB0032 04049B32
	v_fma_f32 v51, v51, s77, v1                                // 00000000575C: D1CB0033 04049B33
	v_fma_f32 v52, v52, s77, v1                                // 000000005764: D1CB0034 04049B34
	v_fma_f32 v53, v53, s77, v1                                // 00000000576C: D1CB0035 04049B35
	v_mul_f32_e32 v50, v50, v172                               // 000000005774: 0A655932
	v_mul_f32_e32 v51, v51, v173                               // 000000005778: 0A675B33
	v_mul_f32_e32 v52, v52, v174                               // 00000000577C: 0A695D34
	v_mul_f32_e32 v53, v53, v175                               // 000000005780: 0A6B5F35
	v_mul_f32_e64 v50, v50, s6                                 // 000000005784: D1050032 00000D32
	v_mul_f32_e64 v51, v51, s6                                 // 00000000578C: D1050033 00000D33
	v_mul_f32_e64 v52, v52, s6                                 // 000000005794: D1050034 00000D34
	v_mul_f32_e64 v53, v53, s6                                 // 00000000579C: D1050035 00000D35
	v_exp_f32_e32 v50, v50                                     // 0000000057A4: 7E644132
	v_exp_f32_e32 v51, v51                                     // 0000000057A8: 7E664133
	v_exp_f32_e32 v52, v52                                     // 0000000057AC: 7E684134
	v_exp_f32_e32 v53, v53                                     // 0000000057B0: 7E6A4135
	buffer_load_dwordx4 a[92:95], v43, s[12:15], 0 offen       // 0000000057B4: E05C1000 80835C2B
	v_add_f32_e64 v50, v50, 1.0                                // 0000000057BC: D1010032 0001E532
	v_add_f32_e64 v51, v51, 1.0                                // 0000000057C4: D1010033 0001E533
	v_add_f32_e64 v52, v52, 1.0                                // 0000000057CC: D1010034 0001E534
	v_add_f32_e64 v53, v53, 1.0                                // 0000000057D4: D1010035 0001E535
	v_rcp_f32_e32 v50, v50                                     // 0000000057DC: 7E644532
	v_rcp_f32_e32 v51, v51                                     // 0000000057E0: 7E664533
	v_rcp_f32_e32 v52, v52                                     // 0000000057E4: 7E684534
	v_rcp_f32_e32 v53, v53                                     // 0000000057E8: 7E6A4535
	v_mul_f32_e32 v172, v172, v50                              // 0000000057EC: 0B5865AC
	v_mul_f32_e32 v173, v173, v51                              // 0000000057F0: 0B5A67AD
	v_mul_f32_e32 v174, v174, v52                              // 0000000057F4: 0B5C69AE
	v_mul_f32_e32 v175, v175, v53                              // 0000000057F8: 0B5E6BAF
	v_mul_f32_e32 v172, v172, v108                             // 0000000057FC: 0B58D9AC
	v_mul_f32_e32 v173, v173, v109                             // 000000005800: 0B5ADBAD
	v_mul_f32_e32 v174, v174, v110                             // 000000005804: 0B5CDDAE
	v_mul_f32_e32 v175, v175, v111                             // 000000005808: 0B5EDFAF
	v_lshlrev_b32_e32 v50, 2, v0                               // 00000000580C: 24640082
	s_mul_i32 s60, s82, s71                                    // 000000005810: 923C4752
	v_add_u32_e64 v80, v50, s60                                // 000000005814: D1340050 00007932
	v_mov_b32_e32 v81, 0                                       // 00000000581C: 7EA20280
	s_mul_i32 s60, s83, s71                                    // 000000005820: 923C4753
	v_add_u32_e64 v82, v50, s60                                // 000000005824: D1340052 00007932
	v_mov_b32_e32 v83, 0                                       // 00000000582C: 7EA60280
	s_mul_i32 s60, s84, s71                                    // 000000005830: 923C4754
	v_add_u32_e64 v84, v50, s60                                // 000000005834: D1340054 00007932
	v_mov_b32_e32 v85, 0                                       // 00000000583C: 7EAA0280
	s_mul_i32 s60, s85, s71                                    // 000000005840: 923C4755
	v_add_u32_e64 v86, v50, s60                                // 000000005844: D1340056 00007932
	v_mov_b32_e32 v87, 0                                       // 00000000584C: 7EAE0280
	s_mul_i32 s60, s86, s71                                    // 000000005850: 923C4756
	v_add_u32_e64 v88, v50, s60                                // 000000005854: D1340058 00007932
	v_mov_b32_e32 v89, 0                                       // 00000000585C: 7EB20280
	s_mul_i32 s60, s87, s71                                    // 000000005860: 923C4757
	v_add_u32_e64 v90, v50, s60                                // 000000005864: D134005A 00007932
	v_mov_b32_e32 v91, 0                                       // 00000000586C: 7EB60280
	s_mul_i32 s60, s88, s71                                    // 000000005870: 923C4758
	v_add_u32_e64 v92, v50, s60                                // 000000005874: D134005C 00007932
	v_mov_b32_e32 v93, 0                                       // 00000000587C: 7EBA0280
	s_mul_i32 s60, s89, s71                                    // 000000005880: 923C4759
	v_add_u32_e64 v94, v50, s60                                // 000000005884: D134005E 00007932
	v_mov_b32_e32 v95, 0                                       // 00000000588C: 7EBE0280
	buffer_load_dword v12, v5, s[16:19], 0 offen               // 000000005890: E0501000 80040C05
	v_mov_b32_e32 v22, 0x358637bd                              // 000000005898: 7E2C02FF 358637BD
	v_mov_b32_e32 v23, 0x358637bd                              // 0000000058A0: 7E2E02FF 358637BD
	v_max3_f32 v22, |v128|, |v129|, v22                        // 0000000058A8: D1D30316 045B0380
	v_max3_f32 v22, |v130|, |v131|, v22                        // 0000000058B0: D1D30316 045B0782
	v_max3_f32 v23, |v132|, |v133|, v23                        // 0000000058B8: D1D30317 045F0B84
	v_max3_f32 v23, |v134|, |v135|, v23                        // 0000000058C0: D1D30317 045F0F86
	v_max3_f32 v22, |v136|, |v137|, v22                        // 0000000058C8: D1D30316 045B1388
	v_max3_f32 v22, |v138|, |v139|, v22                        // 0000000058D0: D1D30316 045B178A
	v_max3_f32 v23, |v140|, |v141|, v23                        // 0000000058D8: D1D30317 045F1B8C
	v_max3_f32 v23, |v142|, |v143|, v23                        // 0000000058E0: D1D30317 045F1F8E
	v_max3_f32 v22, |v144|, |v145|, v22                        // 0000000058E8: D1D30316 045B2390
	v_max3_f32 v22, |v146|, |v147|, v22                        // 0000000058F0: D1D30316 045B2792
	v_max3_f32 v23, |v148|, |v149|, v23                        // 0000000058F8: D1D30317 045F2B94
	v_max3_f32 v23, |v150|, |v151|, v23                        // 000000005900: D1D30317 045F2F96
	v_max3_f32 v22, |v152|, |v153|, v22                        // 000000005908: D1D30316 045B3398
	v_max3_f32 v22, |v154|, |v155|, v22                        // 000000005910: D1D30316 045B379A
	v_max3_f32 v23, |v156|, |v157|, v23                        // 000000005918: D1D30317 045F3B9C
	v_max3_f32 v23, |v158|, |v159|, v23                        // 000000005920: D1D30317 045F3F9E
	v_max3_f32 v22, |v160|, |v161|, v22                        // 000000005928: D1D30316 045B43A0
	v_max3_f32 v22, |v162|, |v163|, v22                        // 000000005930: D1D30316 045B47A2
	v_max3_f32 v23, |v164|, |v165|, v23                        // 000000005938: D1D30317 045F4BA4
	v_max3_f32 v23, |v166|, |v167|, v23                        // 000000005940: D1D30317 045F4FA6
	v_max3_f32 v22, |v168|, |v169|, v22                        // 000000005948: D1D30316 045B53A8
	v_max3_f32 v22, |v170|, |v171|, v22                        // 000000005950: D1D30316 045B57AA
	v_max3_f32 v23, |v172|, |v173|, v23                        // 000000005958: D1D30317 045F5BAC
	v_max3_f32 v23, |v174|, |v175|, v23                        // 000000005960: D1D30317 045F5FAE
	v_lshlrev_b32_e32 v50, 3, v0                               // 000000005968: 24640083
	s_mul_i32 s60, 0x200, s7                                   // 00000000596C: 923C07FF 00000200
	v_add_u32_e32 v50, s60, v50                                // 000000005974: 6864643C
	ds_write_b64 v50, v[22:23] offset:16640                    // 000000005978: D89A4100 00001632
	s_waitcnt lgkmcnt(0)                                       // 000000005980: BF8CC07F
	s_barrier                                                  // 000000005984: BF8A0000
	v_and_b32_e32 v50, 15, v0                                  // 000000005988: 2664008F
	v_lshlrev_b32_e32 v50, 3, v50                              // 00000000598C: 24646483
	ds_read_b64 v[96:97], v50 offset:16640                     // 000000005990: D8EC4100 60000032
	ds_read_b64 v[98:99], v50 offset:16768                     // 000000005998: D8EC4180 62000032
	ds_read_b64 v[100:101], v50 offset:16896                   // 0000000059A0: D8EC4200 64000032
	ds_read_b64 v[102:103], v50 offset:17024                   // 0000000059A8: D8EC4280 66000032
	ds_read_b64 v[104:105], v50 offset:17152                   // 0000000059B0: D8EC4300 68000032
	ds_read_b64 v[106:107], v50 offset:17280                   // 0000000059B8: D8EC4380 6A000032
	ds_read_b64 v[108:109], v50 offset:17408                   // 0000000059C0: D8EC4400 6C000032
	ds_read_b64 v[110:111], v50 offset:17536                   // 0000000059C8: D8EC4480 6E000032
	ds_read_b64 v[112:113], v50 offset:17664                   // 0000000059D0: D8EC4500 70000032
	ds_read_b64 v[114:115], v50 offset:17792                   // 0000000059D8: D8EC4580 72000032
	ds_read_b64 v[116:117], v50 offset:17920                   // 0000000059E0: D8EC4600 74000032
	ds_read_b64 v[118:119], v50 offset:18048                   // 0000000059E8: D8EC4680 76000032
	ds_read_b64 v[120:121], v50 offset:18176                   // 0000000059F0: D8EC4700 78000032
	ds_read_b64 v[122:123], v50 offset:18304                   // 0000000059F8: D8EC4780 7A000032
	ds_read_b64 v[124:125], v50 offset:18432                   // 000000005A00: D8EC4800 7C000032
	ds_read_b64 v[126:127], v50 offset:18560                   // 000000005A08: D8EC4880 7E000032
	s_waitcnt lgkmcnt(0)                                       // 000000005A10: BF8CC07F
	v_max3_f32 v22, |v96|, |v98|, v22                          // 000000005A14: D1D30316 045AC560
	v_max3_f32 v23, |v97|, |v99|, v23                          // 000000005A1C: D1D30317 045EC761
	v_max3_f32 v22, |v100|, |v102|, v22                        // 000000005A24: D1D30316 045ACD64
	v_max3_f32 v23, |v101|, |v103|, v23                        // 000000005A2C: D1D30317 045ECF65
	v_max3_f32 v22, |v104|, |v106|, v22                        // 000000005A34: D1D30316 045AD568
	v_max3_f32 v23, |v105|, |v107|, v23                        // 000000005A3C: D1D30317 045ED769
	v_max3_f32 v22, |v108|, |v110|, v22                        // 000000005A44: D1D30316 045ADD6C
	v_max3_f32 v23, |v109|, |v111|, v23                        // 000000005A4C: D1D30317 045EDF6D
	v_max3_f32 v22, |v112|, |v114|, v22                        // 000000005A54: D1D30316 045AE570
	v_max3_f32 v23, |v113|, |v115|, v23                        // 000000005A5C: D1D30317 045EE771
	v_max3_f32 v22, |v116|, |v118|, v22                        // 000000005A64: D1D30316 045AED74
	v_max3_f32 v23, |v117|, |v119|, v23                        // 000000005A6C: D1D30317 045EEF75
	v_max3_f32 v22, |v120|, |v122|, v22                        // 000000005A74: D1D30316 045AF578
	v_max3_f32 v23, |v121|, |v123|, v23                        // 000000005A7C: D1D30317 045EF779
	v_max3_f32 v22, |v124|, |v126|, v22                        // 000000005A84: D1D30316 045AFD7C
	v_max3_f32 v23, |v125|, |v127|, v23                        // 000000005A8C: D1D30317 045EFF7D
	v_rcp_f32_e32 v22, v22                                     // 000000005A94: 7E2C4516
	v_rcp_f32_e32 v23, v23                                     // 000000005A98: 7E2E4517
	v_mov_b32_e32 v50, 0x43700000                              // 000000005A9C: 7E6402FF 43700000
	v_mul_f32_e32 v22, v50, v22                                // 000000005AA4: 0A2C2D32
	v_mul_f32_e32 v23, v50, v23                                // 000000005AA8: 0A2E2F32
	v_mul_f32_e32 v128, v22, v128                              // 000000005AAC: 0B010116
	v_mul_f32_e32 v129, v22, v129                              // 000000005AB0: 0B030316
	v_mul_f32_e32 v130, v22, v130                              // 000000005AB4: 0B050516
	v_mul_f32_e32 v131, v22, v131                              // 000000005AB8: 0B070716
	v_cvt_pk_fp8_f32 v128, v128, v129                          // 000000005ABC: D2A20080 00030380
	v_cvt_pk_fp8_f32 v128, v130, v131 op_sel:[0,0,1]           // 000000005AC4: D2A24080 00030782
	v_mul_f32_e32 v132, v23, v132                              // 000000005ACC: 0B090917
	v_mul_f32_e32 v133, v23, v133                              // 000000005AD0: 0B0B0B17
	v_mul_f32_e32 v134, v23, v134                              // 000000005AD4: 0B0D0D17
	v_mul_f32_e32 v135, v23, v135                              // 000000005AD8: 0B0F0F17
	v_cvt_pk_fp8_f32 v129, v132, v133                          // 000000005ADC: D2A20081 00030B84
	v_cvt_pk_fp8_f32 v129, v134, v135 op_sel:[0,0,1]           // 000000005AE4: D2A24081 00030F86
	v_mul_f32_e32 v136, v22, v136                              // 000000005AEC: 0B111116
	v_mul_f32_e32 v137, v22, v137                              // 000000005AF0: 0B131316
	v_mul_f32_e32 v138, v22, v138                              // 000000005AF4: 0B151516
	v_mul_f32_e32 v139, v22, v139                              // 000000005AF8: 0B171716
	v_cvt_pk_fp8_f32 v130, v136, v137                          // 000000005AFC: D2A20082 00031388
	v_cvt_pk_fp8_f32 v130, v138, v139 op_sel:[0,0,1]           // 000000005B04: D2A24082 0003178A
	v_mul_f32_e32 v140, v23, v140                              // 000000005B0C: 0B191917
	v_mul_f32_e32 v141, v23, v141                              // 000000005B10: 0B1B1B17
	v_mul_f32_e32 v142, v23, v142                              // 000000005B14: 0B1D1D17
	v_mul_f32_e32 v143, v23, v143                              // 000000005B18: 0B1F1F17
	v_cvt_pk_fp8_f32 v131, v140, v141                          // 000000005B1C: D2A20083 00031B8C
	v_cvt_pk_fp8_f32 v131, v142, v143 op_sel:[0,0,1]           // 000000005B24: D2A24083 00031F8E
	v_mul_f32_e32 v144, v22, v144                              // 000000005B2C: 0B212116
	v_mul_f32_e32 v145, v22, v145                              // 000000005B30: 0B232316
	v_mul_f32_e32 v146, v22, v146                              // 000000005B34: 0B252516
	v_mul_f32_e32 v147, v22, v147                              // 000000005B38: 0B272716
	v_cvt_pk_fp8_f32 v132, v144, v145                          // 000000005B3C: D2A20084 00032390
	v_cvt_pk_fp8_f32 v132, v146, v147 op_sel:[0,0,1]           // 000000005B44: D2A24084 00032792
	v_mul_f32_e32 v148, v23, v148                              // 000000005B4C: 0B292917
	v_mul_f32_e32 v149, v23, v149                              // 000000005B50: 0B2B2B17
	v_mul_f32_e32 v150, v23, v150                              // 000000005B54: 0B2D2D17
	v_mul_f32_e32 v151, v23, v151                              // 000000005B58: 0B2F2F17
	v_cvt_pk_fp8_f32 v133, v148, v149                          // 000000005B5C: D2A20085 00032B94
	v_cvt_pk_fp8_f32 v133, v150, v151 op_sel:[0,0,1]           // 000000005B64: D2A24085 00032F96
	v_mul_f32_e32 v152, v22, v152                              // 000000005B6C: 0B313116
	v_mul_f32_e32 v153, v22, v153                              // 000000005B70: 0B333316
	v_mul_f32_e32 v154, v22, v154                              // 000000005B74: 0B353516
	v_mul_f32_e32 v155, v22, v155                              // 000000005B78: 0B373716
	v_cvt_pk_fp8_f32 v134, v152, v153                          // 000000005B7C: D2A20086 00033398
	v_cvt_pk_fp8_f32 v134, v154, v155 op_sel:[0,0,1]           // 000000005B84: D2A24086 0003379A
	v_mul_f32_e32 v156, v23, v156                              // 000000005B8C: 0B393917
	v_mul_f32_e32 v157, v23, v157                              // 000000005B90: 0B3B3B17
	v_mul_f32_e32 v158, v23, v158                              // 000000005B94: 0B3D3D17
	v_mul_f32_e32 v159, v23, v159                              // 000000005B98: 0B3F3F17
	v_cvt_pk_fp8_f32 v135, v156, v157                          // 000000005B9C: D2A20087 00033B9C
	v_cvt_pk_fp8_f32 v135, v158, v159 op_sel:[0,0,1]           // 000000005BA4: D2A24087 00033F9E
	v_mul_f32_e32 v160, v22, v160                              // 000000005BAC: 0B414116
	v_mul_f32_e32 v161, v22, v161                              // 000000005BB0: 0B434316
	v_mul_f32_e32 v162, v22, v162                              // 000000005BB4: 0B454516
	v_mul_f32_e32 v163, v22, v163                              // 000000005BB8: 0B474716
	v_cvt_pk_fp8_f32 v136, v160, v161                          // 000000005BBC: D2A20088 000343A0
	v_cvt_pk_fp8_f32 v136, v162, v163 op_sel:[0,0,1]           // 000000005BC4: D2A24088 000347A2
	v_mul_f32_e32 v164, v23, v164                              // 000000005BCC: 0B494917
	v_mul_f32_e32 v165, v23, v165                              // 000000005BD0: 0B4B4B17
	v_mul_f32_e32 v166, v23, v166                              // 000000005BD4: 0B4D4D17
	v_mul_f32_e32 v167, v23, v167                              // 000000005BD8: 0B4F4F17
	v_cvt_pk_fp8_f32 v137, v164, v165                          // 000000005BDC: D2A20089 00034BA4
	v_cvt_pk_fp8_f32 v137, v166, v167 op_sel:[0,0,1]           // 000000005BE4: D2A24089 00034FA6
	v_mul_f32_e32 v168, v22, v168                              // 000000005BEC: 0B515116
	v_mul_f32_e32 v169, v22, v169                              // 000000005BF0: 0B535316
	v_mul_f32_e32 v170, v22, v170                              // 000000005BF4: 0B555516
	v_mul_f32_e32 v171, v22, v171                              // 000000005BF8: 0B575716
	v_cvt_pk_fp8_f32 v138, v168, v169                          // 000000005BFC: D2A2008A 000353A8
	v_cvt_pk_fp8_f32 v138, v170, v171 op_sel:[0,0,1]           // 000000005C04: D2A2408A 000357AA
	v_mul_f32_e32 v172, v23, v172                              // 000000005C0C: 0B595917
	v_mul_f32_e32 v173, v23, v173                              // 000000005C10: 0B5B5B17
	v_mul_f32_e32 v174, v23, v174                              // 000000005C14: 0B5D5D17
	v_mul_f32_e32 v175, v23, v175                              // 000000005C18: 0B5F5F17
	v_cvt_pk_fp8_f32 v139, v172, v173                          // 000000005C1C: D2A2008B 00035BAC
	v_cvt_pk_fp8_f32 v139, v174, v175 op_sel:[0,0,1]           // 000000005C24: D2A2408B 00035FAE
	v_rcp_f32_e32 v24, v22                                     // 000000005C2C: 7E304516
	v_rcp_f32_e32 v25, v23                                     // 000000005C30: 7E324517
	v_lshrrev_b32_e32 v50, 5, v0                               // 000000005C34: 20640085
	v_lshlrev_b32_e32 v51, 5, v50                              // 000000005C38: 24666485
	v_and_b32_e32 v50, 31, v0                                  // 000000005C3C: 2664009F
	v_lshrrev_b32_e32 v52, 4, v50                              // 000000005C40: 20686484
	v_add_u32_e32 v51, v52, v51                                // 000000005C44: 68666734
	v_and_b32_e32 v50, 15, v0                                  // 000000005C48: 2664008F
	v_lshlrev_b32_e32 v50, 1, v50                              // 000000005C4C: 24646481
	v_add_u32_e32 v51, v50, v51                                // 000000005C50: 68666732
	v_lshlrev_b32_e32 v50, 2, v51                              // 000000005C54: 24646682
	s_mul_i32 s60, 0x100, s7                                   // 000000005C58: 923C07FF 00000100
	v_add_u32_e64 v50, v50, s60                                // 000000005C60: D1340032 00007932
	ds_write_b32 v50, v128 offset:18688                        // 000000005C68: D81A4900 00008032
	ds_write_b32 v50, v129 offset:24832                        // 000000005C70: D81A6100 00008132
	ds_write_b32 v50, v130 offset:19712                        // 000000005C78: D81A4D00 00008232
	ds_write_b32 v50, v131 offset:25856                        // 000000005C80: D81A6500 00008332
	ds_write_b32 v50, v132 offset:20736                        // 000000005C88: D81A5100 00008432
	ds_write_b32 v50, v133 offset:26880                        // 000000005C90: D81A6900 00008532
	ds_write_b32 v50, v134 offset:21760                        // 000000005C98: D81A5500 00008632
	ds_write_b32 v50, v135 offset:27904                        // 000000005CA0: D81A6D00 00008732
	ds_write_b32 v50, v136 offset:22784                        // 000000005CA8: D81A5900 00008832
	ds_write_b32 v50, v137 offset:28928                        // 000000005CB0: D81A7100 00008932
	ds_write_b32 v50, v138 offset:23808                        // 000000005CB8: D81A5D00 00008A32
	ds_write_b32 v50, v139 offset:29952                        // 000000005CC0: D81A7500 00008B32
	s_waitcnt lgkmcnt(0)                                       // 000000005CC8: BF8CC07F
	s_barrier                                                  // 000000005CCC: BF8A0000
	v_lshrrev_b32_e32 v50, 4, v0                               // 000000005CD0: 20640084
	v_lshlrev_b32_e32 v51, 6, v50                              // 000000005CD4: 24666486
	v_and_b32_e32 v50, 15, v0                                  // 000000005CD8: 2664008F
	v_lshlrev_b32_e32 v50, 1, v50                              // 000000005CDC: 24646481
	v_add_u32_e32 v51, v50, v51                                // 000000005CE0: 68666732
	v_lshlrev_b32_e32 v50, 2, v51                              // 000000005CE4: 24646682
	ds_read_b64 v[128:129], v50 offset:18688                   // 000000005CE8: D8EC4900 80000032
	ds_read_b64 v[130:131], v50 offset:18816                   // 000000005CF0: D8EC4980 82000032
	ds_read_b64 v[132:133], v50 offset:19712                   // 000000005CF8: D8EC4D00 84000032
	ds_read_b64 v[134:135], v50 offset:19840                   // 000000005D00: D8EC4D80 86000032
	ds_read_b64 v[136:137], v50 offset:20736                   // 000000005D08: D8EC5100 88000032
	ds_read_b64 v[138:139], v50 offset:20864                   // 000000005D10: D8EC5180 8A000032
	ds_read_b64 v[140:141], v50 offset:21760                   // 000000005D18: D8EC5500 8C000032
	ds_read_b64 v[142:143], v50 offset:21888                   // 000000005D20: D8EC5580 8E000032
	ds_read_b64 v[144:145], v50 offset:22784                   // 000000005D28: D8EC5900 90000032
	ds_read_b64 v[146:147], v50 offset:22912                   // 000000005D30: D8EC5980 92000032
	ds_read_b64 v[148:149], v50 offset:23808                   // 000000005D38: D8EC5D00 94000032
	ds_read_b64 v[150:151], v50 offset:23936                   // 000000005D40: D8EC5D80 96000032
	ds_read_b64 v[152:153], v50 offset:24832                   // 000000005D48: D8EC6100 98000032
	ds_read_b64 v[154:155], v50 offset:24960                   // 000000005D50: D8EC6180 9A000032
	ds_read_b64 v[156:157], v50 offset:25856                   // 000000005D58: D8EC6500 9C000032
	ds_read_b64 v[158:159], v50 offset:25984                   // 000000005D60: D8EC6580 9E000032
	ds_read_b64 v[160:161], v50 offset:26880                   // 000000005D68: D8EC6900 A0000032
	ds_read_b64 v[162:163], v50 offset:27008                   // 000000005D70: D8EC6980 A2000032
	ds_read_b64 v[164:165], v50 offset:27904                   // 000000005D78: D8EC6D00 A4000032
	ds_read_b64 v[166:167], v50 offset:28032                   // 000000005D80: D8EC6D80 A6000032
	ds_read_b64 v[168:169], v50 offset:28928                   // 000000005D88: D8EC7100 A8000032
	ds_read_b64 v[170:171], v50 offset:29056                   // 000000005D90: D8EC7180 AA000032
	ds_read_b64 v[172:173], v50 offset:29952                   // 000000005D98: D8EC7500 AC000032
	ds_read_b64 v[174:175], v50 offset:30080                   // 000000005DA0: D8EC7580 AE000032
	s_add_u32 s12, s56, s12                                    // 000000005DA8: 800C0C38
	s_addc_u32 s13, 0, s13                                     // 000000005DAC: 820D0D80
	s_add_u32 s16, s79, s16                                    // 000000005DB0: 8010104F
	s_addc_u32 s17, 0, s17                                     // 000000005DB4: 82111180
	s_waitcnt lgkmcnt(0)                                       // 000000005DB8: BF8CC07F
	s_barrier                                                  // 000000005DBC: BF8A0000
	v_mov_b32_e32 v176, 0                                      // 000000005DC0: 7F600280
	v_mov_b32_e32 v208, 0                                      // 000000005DC4: 7FA00280
	v_mov_b32_e32 v177, 0                                      // 000000005DC8: 7F620280
	v_mov_b32_e32 v209, 0                                      // 000000005DCC: 7FA20280
	v_mov_b32_e32 v178, 0                                      // 000000005DD0: 7F640280
	v_mov_b32_e32 v210, 0                                      // 000000005DD4: 7FA40280
	v_mov_b32_e32 v179, 0                                      // 000000005DD8: 7F660280
	v_mov_b32_e32 v211, 0                                      // 000000005DDC: 7FA60280
	v_mov_b32_e32 v180, 0                                      // 000000005DE0: 7F680280
	v_mov_b32_e32 v212, 0                                      // 000000005DE4: 7FA80280
	v_mov_b32_e32 v181, 0                                      // 000000005DE8: 7F6A0280
	v_mov_b32_e32 v213, 0                                      // 000000005DEC: 7FAA0280
	v_mov_b32_e32 v182, 0                                      // 000000005DF0: 7F6C0280
	v_mov_b32_e32 v214, 0                                      // 000000005DF4: 7FAC0280
	v_mov_b32_e32 v183, 0                                      // 000000005DF8: 7F6E0280
	v_mov_b32_e32 v215, 0                                      // 000000005DFC: 7FAE0280
	v_mov_b32_e32 v184, 0                                      // 000000005E00: 7F700280
	v_mov_b32_e32 v216, 0                                      // 000000005E04: 7FB00280
	v_mov_b32_e32 v185, 0                                      // 000000005E08: 7F720280
	v_mov_b32_e32 v217, 0                                      // 000000005E0C: 7FB20280
	v_mov_b32_e32 v186, 0                                      // 000000005E10: 7F740280
	v_mov_b32_e32 v218, 0                                      // 000000005E14: 7FB40280
	v_mov_b32_e32 v187, 0                                      // 000000005E18: 7F760280
	v_mov_b32_e32 v219, 0                                      // 000000005E1C: 7FB60280
	v_mov_b32_e32 v188, 0                                      // 000000005E20: 7F780280
	v_mov_b32_e32 v220, 0                                      // 000000005E24: 7FB80280
	v_mov_b32_e32 v189, 0                                      // 000000005E28: 7F7A0280
	v_mov_b32_e32 v221, 0                                      // 000000005E2C: 7FBA0280
	v_mov_b32_e32 v190, 0                                      // 000000005E30: 7F7C0280
	v_mov_b32_e32 v222, 0                                      // 000000005E34: 7FBC0280
	v_mov_b32_e32 v191, 0                                      // 000000005E38: 7F7E0280
	v_mov_b32_e32 v223, 0                                      // 000000005E3C: 7FBE0280
	ds_write_b64 v3, v[176:177] offset:18688                   // 000000005E40: D89A4900 0000B003
	ds_write_b64 v3, v[178:179] offset:27392                   // 000000005E48: D89A6B00 0000B203
	ds_write_b64 v3, v[180:181] offset:20864                   // 000000005E50: D89A5180 0000B403
	ds_write_b64 v3, v[182:183] offset:29568                   // 000000005E58: D89A7380 0000B603
	ds_write_b64 v3, v[184:185] offset:23040                   // 000000005E60: D89A5A00 0000B803
	ds_write_b64 v3, v[186:187] offset:31744                   // 000000005E68: D89A7C00 0000BA03
	ds_write_b64 v3, v[188:189] offset:25216                   // 000000005E70: D89A6280 0000BC03
	ds_write_b64 v3, v[190:191] offset:33920                   // 000000005E78: D89A8480 0000BE03
	s_mov_b32 s80, 0                                           // 000000005E80: BED00080
	s_waitcnt vmcnt(0) expcnt(0) lgkmcnt(0)                    // 000000005E84: BF8C0000

0000000000005e88 <label_0C22>:
	s_waitcnt vmcnt(21) lgkmcnt(0)                             // 000000005E88: BF8C4075
	s_barrier                                                  // 000000005E8C: BF8A0000
	v_mfma_f32_16x16x32_fp8_fp8 v[176:179], a[0:1], v[128:129], 0// 000000005E90: D3F300B0 0A030100
	ds_read_b32 v64, v4 offset:18688                           // 000000005E98: D86C4900 40000004
	ds_read_b32 v65, v4 offset:23040                           // 000000005EA0: D86C5A00 41000004
	v_mfma_f32_16x16x32_fp8_fp8 v[176:179], a[2:3], v[130:131], v[176:179]// 000000005EA8: D3F300B0 0EC30502
	buffer_load_dwordx4 a[96:99], v40, s[12:15], 0 offen       // 000000005EB0: E05C1000 80836028
	v_mfma_f32_16x16x32_fp8_fp8 v[180:183], a[0:1], v[152:153], 0// 000000005EB8: D3F300B4 0A033100
	ds_read_b32 v66, v4 offset:18720                           // 000000005EC0: D86C4920 42000004
	ds_read_b32 v67, v4 offset:23072                           // 000000005EC8: D86C5A20 43000004
	v_mfma_f32_16x16x32_fp8_fp8 v[180:183], a[2:3], v[154:155], v[180:183]// 000000005ED0: D3F300B4 0ED33502
	v_mfma_f32_16x16x32_fp8_fp8 v[184:187], a[4:5], v[128:129], 0// 000000005ED8: D3F300B8 0A030104
	ds_read_b32 v68, v4 offset:18752                           // 000000005EE0: D86C4940 44000004
	ds_read_b32 v69, v4 offset:23104                           // 000000005EE8: D86C5A40 45000004
	v_mfma_f32_16x16x32_fp8_fp8 v[184:187], a[6:7], v[130:131], v[184:187]// 000000005EF0: D3F300B8 0EE30506
	buffer_load_dwordx4 a[100:103], v41, s[12:15], 0 offen     // 000000005EF8: E05C1000 80836429
	v_mfma_f32_16x16x32_fp8_fp8 v[188:191], a[4:5], v[152:153], 0// 000000005F00: D3F300BC 0A033104
	ds_read_b32 v70, v4 offset:18784                           // 000000005F08: D86C4960 46000004
	ds_read_b32 v71, v4 offset:23136                           // 000000005F10: D86C5A60 47000004
	v_mfma_f32_16x16x32_fp8_fp8 v[188:191], a[6:7], v[154:155], v[188:191]// 000000005F18: D3F300BC 0EF33506
	v_mfma_f32_16x16x32_fp8_fp8 v[192:195], a[8:9], v[128:129], 0// 000000005F20: D3F300C0 0A030108
	ds_read_b32 v72, v4 offset:27392                           // 000000005F28: D86C6B00 48000004
	ds_read_b32 v73, v4 offset:31744                           // 000000005F30: D86C7C00 49000004
	v_mfma_f32_16x16x32_fp8_fp8 v[192:195], a[10:11], v[130:131], v[192:195]// 000000005F38: D3F300C0 0F03050A
	buffer_load_dwordx4 a[104:107], v42, s[12:15], 0 offen     // 000000005F40: E05C1000 8083682A
	v_mfma_f32_16x16x32_fp8_fp8 v[196:199], a[8:9], v[152:153], 0// 000000005F48: D3F300C4 0A033108
	ds_read_b32 v74, v4 offset:27424                           // 000000005F50: D86C6B20 4A000004
	ds_read_b32 v75, v4 offset:31776                           // 000000005F58: D86C7C20 4B000004
	v_mfma_f32_16x16x32_fp8_fp8 v[196:199], a[10:11], v[154:155], v[196:199]// 000000005F60: D3F300C4 0F13350A
	v_mfma_f32_16x16x32_fp8_fp8 v[200:203], a[12:13], v[128:129], 0// 000000005F68: D3F300C8 0A03010C
	ds_read_b32 v76, v4 offset:27456                           // 000000005F70: D86C6B40 4C000004
	ds_read_b32 v77, v4 offset:31808                           // 000000005F78: D86C7C40 4D000004
	v_mfma_f32_16x16x32_fp8_fp8 v[200:203], a[14:15], v[130:131], v[200:203]// 000000005F80: D3F300C8 0F23050E
	buffer_load_dwordx4 a[108:111], v43, s[12:15], 0 offen     // 000000005F88: E05C1000 80836C2B
	s_add_u32 s12, s78, s12                                    // 000000005F90: 800C0C4E
	s_addc_u32 s13, 0, s13                                     // 000000005F94: 820D0D80
	v_mfma_f32_16x16x32_fp8_fp8 v[204:207], a[12:13], v[152:153], 0// 000000005F98: D3F300CC 0A03310C
	ds_read_b32 v78, v4 offset:27488                           // 000000005FA0: D86C6B60 4E000004
	ds_read_b32 v79, v4 offset:31840                           // 000000005FA8: D86C7C60 4F000004
	v_mfma_f32_16x16x32_fp8_fp8 v[204:207], a[14:15], v[154:155], v[204:207]// 000000005FB0: D3F300CC 0F33350E
	s_waitcnt vmcnt(21)                                        // 000000005FB8: BF8C4F75
	v_mfma_f32_16x16x32_fp8_fp8 v[176:179], a[16:17], v[132:133], v[176:179]// 000000005FBC: D3F300B0 0EC30910
	v_mfma_f32_16x16x32_fp8_fp8 v[176:179], a[18:19], v[134:135], v[176:179]// 000000005FC4: D3F300B0 0EC30D12
	buffer_load_dwordx4 a[112:115], v40, s[12:15], 0 offen     // 000000005FCC: E05C1000 80837028
	v_mfma_f32_16x16x32_fp8_fp8 v[180:183], a[16:17], v[156:157], v[180:183]// 000000005FD4: D3F300B4 0ED33910
	v_mfma_f32_16x16x32_fp8_fp8 v[180:183], a[18:19], v[158:159], v[180:183]// 000000005FDC: D3F300B4 0ED33D12
	v_mfma_f32_16x16x32_fp8_fp8 v[184:187], a[20:21], v[132:133], v[184:187]// 000000005FE4: D3F300B8 0EE30914
	v_mfma_f32_16x16x32_fp8_fp8 v[184:187], a[22:23], v[134:135], v[184:187]// 000000005FEC: D3F300B8 0EE30D16
	buffer_load_dwordx4 a[116:119], v41, s[12:15], 0 offen     // 000000005FF4: E05C1000 80837429
	v_mfma_f32_16x16x32_fp8_fp8 v[188:191], a[20:21], v[156:157], v[188:191]// 000000005FFC: D3F300BC 0EF33914
	v_mfma_f32_16x16x32_fp8_fp8 v[188:191], a[22:23], v[158:159], v[188:191]// 000000006004: D3F300BC 0EF33D16
	v_mfma_f32_16x16x32_fp8_fp8 v[192:195], a[24:25], v[132:133], v[192:195]// 00000000600C: D3F300C0 0F030918
	v_mfma_f32_16x16x32_fp8_fp8 v[192:195], a[26:27], v[134:135], v[192:195]// 000000006014: D3F300C0 0F030D1A
	buffer_load_dwordx4 a[120:123], v42, s[12:15], 0 offen     // 00000000601C: E05C1000 8083782A
	v_mfma_f32_16x16x32_fp8_fp8 v[196:199], a[24:25], v[156:157], v[196:199]// 000000006024: D3F300C4 0F133918
	v_mfma_f32_16x16x32_fp8_fp8 v[196:199], a[26:27], v[158:159], v[196:199]// 00000000602C: D3F300C4 0F133D1A
	v_mfma_f32_16x16x32_fp8_fp8 v[200:203], a[28:29], v[132:133], v[200:203]// 000000006034: D3F300C8 0F23091C
	v_mfma_f32_16x16x32_fp8_fp8 v[200:203], a[30:31], v[134:135], v[200:203]// 00000000603C: D3F300C8 0F230D1E
	buffer_load_dwordx4 a[124:127], v43, s[12:15], 0 offen     // 000000006044: E05C1000 80837C2B
	s_add_u32 s12, s78, s12                                    // 00000000604C: 800C0C4E
	s_addc_u32 s13, 0, s13                                     // 000000006050: 820D0D80
	v_mfma_f32_16x16x32_fp8_fp8 v[204:207], a[28:29], v[156:157], v[204:207]// 000000006054: D3F300CC 0F33391C
	v_mfma_f32_16x16x32_fp8_fp8 v[204:207], a[30:31], v[158:159], v[204:207]// 00000000605C: D3F300CC 0F333D1E
	s_waitcnt vmcnt(21)                                        // 000000006064: BF8C4F75
	v_mfma_f32_16x16x32_fp8_fp8 v[176:179], a[32:33], v[136:137], v[176:179]// 000000006068: D3F300B0 0EC31120
	ds_write_b64 v3, v[208:209] offset:36096                   // 000000006070: D89A8D00 0000D003
	v_mfma_f32_16x16x32_fp8_fp8 v[176:179], a[34:35], v[138:139], v[176:179]// 000000006078: D3F300B0 0EC31522
	buffer_load_dwordx4 a[128:131], v40, s[12:15], 0 offen     // 000000006080: E05C1000 80838028
	v_mfma_f32_16x16x32_fp8_fp8 v[180:183], a[32:33], v[160:161], v[180:183]// 000000006088: D3F300B4 0ED34120
	ds_write_b64 v3, v[210:211] offset:44800                   // 000000006090: D89AAF00 0000D203
	v_mfma_f32_16x16x32_fp8_fp8 v[180:183], a[34:35], v[162:163], v[180:183]// 000000006098: D3F300B4 0ED34522
	v_mfma_f32_16x16x32_fp8_fp8 v[184:187], a[36:37], v[136:137], v[184:187]// 0000000060A0: D3F300B8 0EE31124
	ds_write_b64 v3, v[212:213] offset:38272                   // 0000000060A8: D89A9580 0000D403
	v_mfma_f32_16x16x32_fp8_fp8 v[184:187], a[38:39], v[138:139], v[184:187]// 0000000060B0: D3F300B8 0EE31526
	buffer_load_dwordx4 a[132:135], v41, s[12:15], 0 offen     // 0000000060B8: E05C1000 80838429
	v_mfma_f32_16x16x32_fp8_fp8 v[188:191], a[36:37], v[160:161], v[188:191]// 0000000060C0: D3F300BC 0EF34124
	ds_write_b64 v3, v[214:215] offset:46976                   // 0000000060C8: D89AB780 0000D603
	v_mfma_f32_16x16x32_fp8_fp8 v[188:191], a[38:39], v[162:163], v[188:191]// 0000000060D0: D3F300BC 0EF34526
	v_mfma_f32_16x16x32_fp8_fp8 v[192:195], a[40:41], v[136:137], v[192:195]// 0000000060D8: D3F300C0 0F031128
	ds_write_b64 v3, v[216:217] offset:40448                   // 0000000060E0: D89A9E00 0000D803
	v_mfma_f32_16x16x32_fp8_fp8 v[192:195], a[42:43], v[138:139], v[192:195]// 0000000060E8: D3F300C0 0F03152A
	buffer_load_dwordx4 a[136:139], v42, s[12:15], 0 offen     // 0000000060F0: E05C1000 8083882A
	v_mfma_f32_16x16x32_fp8_fp8 v[196:199], a[40:41], v[160:161], v[196:199]// 0000000060F8: D3F300C4 0F134128
	ds_write_b64 v3, v[218:219] offset:49152                   // 000000006100: D89AC000 0000DA03
	v_mfma_f32_16x16x32_fp8_fp8 v[196:199], a[42:43], v[162:163], v[196:199]// 000000006108: D3F300C4 0F13452A
	v_mfma_f32_16x16x32_fp8_fp8 v[200:203], a[44:45], v[136:137], v[200:203]// 000000006110: D3F300C8 0F23112C
	ds_write_b64 v3, v[220:221] offset:42624                   // 000000006118: D89AA680 0000DC03
	v_mfma_f32_16x16x32_fp8_fp8 v[200:203], a[46:47], v[138:139], v[200:203]// 000000006120: D3F300C8 0F23152E
	buffer_load_dwordx4 a[140:143], v43, s[12:15], 0 offen     // 000000006128: E05C1000 80838C2B
	s_add_u32 s12, s78, s12                                    // 000000006130: 800C0C4E
	s_addc_u32 s13, 0, s13                                     // 000000006134: 820D0D80
	v_mfma_f32_16x16x32_fp8_fp8 v[204:207], a[44:45], v[160:161], v[204:207]// 000000006138: D3F300CC 0F33412C
	ds_write_b64 v3, v[222:223] offset:51328                   // 000000006140: D89AC880 0000DE03
	v_mfma_f32_16x16x32_fp8_fp8 v[204:207], a[46:47], v[162:163], v[204:207]// 000000006148: D3F300CC 0F33452E
	s_waitcnt vmcnt(21)                                        // 000000006150: BF8C4F75
	v_mfma_f32_16x16x32_fp8_fp8 v[176:179], a[48:49], v[140:141], v[176:179]// 000000006154: D3F300B0 0EC31930
	v_mfma_f32_16x16x32_fp8_fp8 v[176:179], a[50:51], v[142:143], v[176:179]// 00000000615C: D3F300B0 0EC31D32
	buffer_load_dwordx4 a[144:147], v40, s[12:15], 0 offen     // 000000006164: E05C1000 80839028
	v_mfma_f32_16x16x32_fp8_fp8 v[180:183], a[48:49], v[164:165], v[180:183]// 00000000616C: D3F300B4 0ED34930
	v_mfma_f32_16x16x32_fp8_fp8 v[180:183], a[50:51], v[166:167], v[180:183]// 000000006174: D3F300B4 0ED34D32
	v_mfma_f32_16x16x32_fp8_fp8 v[184:187], a[52:53], v[140:141], v[184:187]// 00000000617C: D3F300B8 0EE31934
	v_mfma_f32_16x16x32_fp8_fp8 v[184:187], a[54:55], v[142:143], v[184:187]// 000000006184: D3F300B8 0EE31D36
	buffer_load_dwordx4 a[148:151], v41, s[12:15], 0 offen     // 00000000618C: E05C1000 80839429
	v_mfma_f32_16x16x32_fp8_fp8 v[188:191], a[52:53], v[164:165], v[188:191]// 000000006194: D3F300BC 0EF34934
	v_mfma_f32_16x16x32_fp8_fp8 v[188:191], a[54:55], v[166:167], v[188:191]// 00000000619C: D3F300BC 0EF34D36
	v_mfma_f32_16x16x32_fp8_fp8 v[192:195], a[56:57], v[140:141], v[192:195]// 0000000061A4: D3F300C0 0F031938
	v_mfma_f32_16x16x32_fp8_fp8 v[192:195], a[58:59], v[142:143], v[192:195]// 0000000061AC: D3F300C0 0F031D3A
	buffer_load_dwordx4 a[152:155], v42, s[12:15], 0 offen     // 0000000061B4: E05C1000 8083982A
	v_mfma_f32_16x16x32_fp8_fp8 v[196:199], a[56:57], v[164:165], v[196:199]// 0000000061BC: D3F300C4 0F134938
	v_mfma_f32_16x16x32_fp8_fp8 v[196:199], a[58:59], v[166:167], v[196:199]// 0000000061C4: D3F300C4 0F134D3A
	v_mfma_f32_16x16x32_fp8_fp8 v[200:203], a[60:61], v[140:141], v[200:203]// 0000000061CC: D3F300C8 0F23193C
	v_mfma_f32_16x16x32_fp8_fp8 v[200:203], a[62:63], v[142:143], v[200:203]// 0000000061D4: D3F300C8 0F231D3E
	buffer_load_dwordx4 a[156:159], v43, s[12:15], 0 offen     // 0000000061DC: E05C1000 80839C2B
	s_add_u32 s12, s78, s12                                    // 0000000061E4: 800C0C4E
	s_addc_u32 s13, 0, s13                                     // 0000000061E8: 820D0D80
	v_mfma_f32_16x16x32_fp8_fp8 v[204:207], a[60:61], v[164:165], v[204:207]// 0000000061EC: D3F300CC 0F33493C
	v_mfma_f32_16x16x32_fp8_fp8 v[204:207], a[62:63], v[166:167], v[204:207]// 0000000061F4: D3F300CC 0F334D3E
	s_waitcnt vmcnt(21)                                        // 0000000061FC: BF8C4F75
	v_mfma_f32_16x16x32_fp8_fp8 v[176:179], a[64:65], v[144:145], v[176:179]// 000000006200: D3F300B0 0EC32140
	v_mfma_f32_16x16x32_fp8_fp8 v[176:179], a[66:67], v[146:147], v[176:179]// 000000006208: D3F300B0 0EC32542
	buffer_load_dwordx4 a[160:163], v40, s[12:15], 0 offen     // 000000006210: E05C1000 8083A028
	v_mfma_f32_16x16x32_fp8_fp8 v[180:183], a[64:65], v[168:169], v[180:183]// 000000006218: D3F300B4 0ED35140
	v_mfma_f32_16x16x32_fp8_fp8 v[180:183], a[66:67], v[170:171], v[180:183]// 000000006220: D3F300B4 0ED35542
	v_mfma_f32_16x16x32_fp8_fp8 v[184:187], a[68:69], v[144:145], v[184:187]// 000000006228: D3F300B8 0EE32144
	v_mfma_f32_16x16x32_fp8_fp8 v[184:187], a[70:71], v[146:147], v[184:187]// 000000006230: D3F300B8 0EE32546
	buffer_load_dwordx4 a[164:167], v41, s[12:15], 0 offen     // 000000006238: E05C1000 8083A429
	v_mfma_f32_16x16x32_fp8_fp8 v[188:191], a[68:69], v[168:169], v[188:191]// 000000006240: D3F300BC 0EF35144
	v_mfma_f32_16x16x32_fp8_fp8 v[188:191], a[70:71], v[170:171], v[188:191]// 000000006248: D3F300BC 0EF35546
	v_mfma_f32_16x16x32_fp8_fp8 v[192:195], a[72:73], v[144:145], v[192:195]// 000000006250: D3F300C0 0F032148
	v_mfma_f32_16x16x32_fp8_fp8 v[192:195], a[74:75], v[146:147], v[192:195]// 000000006258: D3F300C0 0F03254A
	buffer_load_dwordx4 a[168:171], v42, s[12:15], 0 offen     // 000000006260: E05C1000 8083A82A
	v_mfma_f32_16x16x32_fp8_fp8 v[196:199], a[72:73], v[168:169], v[196:199]// 000000006268: D3F300C4 0F135148
	v_mfma_f32_16x16x32_fp8_fp8 v[196:199], a[74:75], v[170:171], v[196:199]// 000000006270: D3F300C4 0F13554A
	v_mfma_f32_16x16x32_fp8_fp8 v[200:203], a[76:77], v[144:145], v[200:203]// 000000006278: D3F300C8 0F23214C
	v_mfma_f32_16x16x32_fp8_fp8 v[200:203], a[78:79], v[146:147], v[200:203]// 000000006280: D3F300C8 0F23254E
	buffer_load_dwordx4 a[172:175], v43, s[12:15], 0 offen     // 000000006288: E05C1000 8083AC2B
	s_add_u32 s12, s78, s12                                    // 000000006290: 800C0C4E
	s_addc_u32 s13, 0, s13                                     // 000000006294: 820D0D80
	v_mfma_f32_16x16x32_fp8_fp8 v[204:207], a[76:77], v[168:169], v[204:207]// 000000006298: D3F300CC 0F33514C
	v_mfma_f32_16x16x32_fp8_fp8 v[204:207], a[78:79], v[170:171], v[204:207]// 0000000062A0: D3F300CC 0F33554E
	s_waitcnt vmcnt(20)                                        // 0000000062A8: BF8C4F74
	v_mfma_f32_16x16x32_fp8_fp8 v[176:179], a[80:81], v[148:149], v[176:179]// 0000000062AC: D3F300B0 0EC32950
	v_mfma_f32_16x16x32_fp8_fp8 v[176:179], a[82:83], v[150:151], v[176:179]// 0000000062B4: D3F300B0 0EC32D52
	buffer_load_dwordx4 a[176:179], v40, s[12:15], 0 offen     // 0000000062BC: E05C1000 8083B028
	v_mfma_f32_16x16x32_fp8_fp8 v[180:183], a[80:81], v[172:173], v[180:183]// 0000000062C4: D3F300B4 0ED35950
	v_mfma_f32_16x16x32_fp8_fp8 v[180:183], a[82:83], v[174:175], v[180:183]// 0000000062CC: D3F300B4 0ED35D52
	buffer_load_dword v13, v5, s[16:19], 0 offen               // 0000000062D4: E0501000 80040D05
	v_mfma_f32_16x16x32_fp8_fp8 v[184:187], a[84:85], v[148:149], v[184:187]// 0000000062DC: D3F300B8 0EE32954
	v_mfma_f32_16x16x32_fp8_fp8 v[184:187], a[86:87], v[150:151], v[184:187]// 0000000062E4: D3F300B8 0EE32D56
	buffer_load_dwordx4 a[180:183], v41, s[12:15], 0 offen     // 0000000062EC: E05C1000 8083B429
	v_mfma_f32_16x16x32_fp8_fp8 v[188:191], a[84:85], v[172:173], v[188:191]// 0000000062F4: D3F300BC 0EF35954
	v_mfma_f32_16x16x32_fp8_fp8 v[188:191], a[86:87], v[174:175], v[188:191]// 0000000062FC: D3F300BC 0EF35D56
	v_mfma_f32_16x16x32_fp8_fp8 v[192:195], a[88:89], v[148:149], v[192:195]// 000000006304: D3F300C0 0F032958
	v_mfma_f32_16x16x32_fp8_fp8 v[192:195], a[90:91], v[150:151], v[192:195]// 00000000630C: D3F300C0 0F032D5A
	buffer_load_dwordx4 a[184:187], v42, s[12:15], 0 offen     // 000000006314: E05C1000 8083B82A
	v_mfma_f32_16x16x32_fp8_fp8 v[196:199], a[88:89], v[172:173], v[196:199]// 00000000631C: D3F300C4 0F135958
	v_mfma_f32_16x16x32_fp8_fp8 v[196:199], a[90:91], v[174:175], v[196:199]// 000000006324: D3F300C4 0F135D5A
	v_mfma_f32_16x16x32_fp8_fp8 v[200:203], a[92:93], v[148:149], v[200:203]// 00000000632C: D3F300C8 0F23295C
	v_mfma_f32_16x16x32_fp8_fp8 v[200:203], a[94:95], v[150:151], v[200:203]// 000000006334: D3F300C8 0F232D5E
	buffer_load_dwordx4 a[188:191], v43, s[12:15], 0 offen     // 00000000633C: E05C1000 8083BC2B
	v_mfma_f32_16x16x32_fp8_fp8 v[204:207], a[92:93], v[172:173], v[204:207]// 000000006344: D3F300CC 0F33595C
	v_mfma_f32_16x16x32_fp8_fp8 v[204:207], a[94:95], v[174:175], v[204:207]// 00000000634C: D3F300CC 0F335D5E
	s_add_u32 s60, 0x200, s80                                  // 000000006354: 803C50FF 00000200
	s_cmp_lt_u32 s60, s81                                      // 00000000635C: BF0A513C
	s_cselect_b32 s56, s56, 0                                  // 000000006360: 85388038
	s_cselect_b32 s78, s78, 0                                  // 000000006364: 854E804E
	s_cselect_b32 s79, s79, 0                                  // 000000006368: 854F804F
	s_add_u32 s12, s56, s12                                    // 00000000636C: 800C0C38
	s_addc_u32 s13, 0, s13                                     // 000000006370: 820D0D80
	s_add_u32 s16, s79, s16                                    // 000000006374: 8010104F
	s_addc_u32 s17, 0, s17                                     // 000000006378: 82111180
	v_mul_f32_e32 v176, v24, v176                              // 00000000637C: 0B616118
	v_mul_f32_e32 v177, v24, v177                              // 000000006380: 0B636318
	v_mul_f32_e32 v178, v24, v178                              // 000000006384: 0B656518
	v_mul_f32_e32 v179, v24, v179                              // 000000006388: 0B676718
	v_mul_f32_dpp v176, v12, v176 row_newbcast:0 row_mask:0xf bank_mask:0xf// 00000000638C: 0B6160FA FF01500C
	v_mul_f32_dpp v177, v12, v177 row_newbcast:1 row_mask:0xf bank_mask:0xf// 000000006394: 0B6362FA FF01510C
	v_mul_f32_dpp v178, v12, v178 row_newbcast:2 row_mask:0xf bank_mask:0xf// 00000000639C: 0B6564FA FF01520C
	v_mul_f32_dpp v179, v12, v179 row_newbcast:3 row_mask:0xf bank_mask:0xf// 0000000063A4: 0B6766FA FF01530C
	v_mul_f32_e32 v176, v20, v176                              // 0000000063AC: 0B616114
	v_mul_f32_e32 v177, v20, v177                              // 0000000063B0: 0B636314
	v_mul_f32_e32 v178, v20, v178                              // 0000000063B4: 0B656514
	v_mul_f32_e32 v179, v20, v179                              // 0000000063B8: 0B676714
	v_mul_f32_e32 v180, v25, v180                              // 0000000063BC: 0B696919
	v_mul_f32_e32 v181, v25, v181                              // 0000000063C0: 0B6B6B19
	v_mul_f32_e32 v182, v25, v182                              // 0000000063C4: 0B6D6D19
	v_mul_f32_e32 v183, v25, v183                              // 0000000063C8: 0B6F6F19
	v_mul_f32_dpp v180, v12, v180 row_newbcast:0 row_mask:0xf bank_mask:0xf// 0000000063CC: 0B6968FA FF01500C
	v_mul_f32_dpp v181, v12, v181 row_newbcast:1 row_mask:0xf bank_mask:0xf// 0000000063D4: 0B6B6AFA FF01510C
	v_mul_f32_dpp v182, v12, v182 row_newbcast:2 row_mask:0xf bank_mask:0xf// 0000000063DC: 0B6D6CFA FF01520C
	v_mul_f32_dpp v183, v12, v183 row_newbcast:3 row_mask:0xf bank_mask:0xf// 0000000063E4: 0B6F6EFA FF01530C
	v_mul_f32_e32 v180, v21, v180                              // 0000000063EC: 0B696915
	v_mul_f32_e32 v181, v21, v181                              // 0000000063F0: 0B6B6B15
	v_mul_f32_e32 v182, v21, v182                              // 0000000063F4: 0B6D6D15
	v_mul_f32_e32 v183, v21, v183                              // 0000000063F8: 0B6F6F15
	v_mul_f32_e32 v184, v24, v184                              // 0000000063FC: 0B717118
	v_mul_f32_e32 v185, v24, v185                              // 000000006400: 0B737318
	v_mul_f32_e32 v186, v24, v186                              // 000000006404: 0B757518
	v_mul_f32_e32 v187, v24, v187                              // 000000006408: 0B777718
	v_mul_f32_dpp v184, v12, v184 row_newbcast:4 row_mask:0xf bank_mask:0xf// 00000000640C: 0B7170FA FF01540C
	v_mul_f32_dpp v185, v12, v185 row_newbcast:5 row_mask:0xf bank_mask:0xf// 000000006414: 0B7372FA FF01550C
	v_mul_f32_dpp v186, v12, v186 row_newbcast:6 row_mask:0xf bank_mask:0xf// 00000000641C: 0B7574FA FF01560C
	v_mul_f32_dpp v187, v12, v187 row_newbcast:7 row_mask:0xf bank_mask:0xf// 000000006424: 0B7776FA FF01570C
	v_mul_f32_e32 v184, v20, v184                              // 00000000642C: 0B717114
	v_mul_f32_e32 v185, v20, v185                              // 000000006430: 0B737314
	v_mul_f32_e32 v186, v20, v186                              // 000000006434: 0B757514
	v_mul_f32_e32 v187, v20, v187                              // 000000006438: 0B777714
	v_mul_f32_e32 v188, v25, v188                              // 00000000643C: 0B797919
	v_mul_f32_e32 v189, v25, v189                              // 000000006440: 0B7B7B19
	v_mul_f32_e32 v190, v25, v190                              // 000000006444: 0B7D7D19
	v_mul_f32_e32 v191, v25, v191                              // 000000006448: 0B7F7F19
	v_mul_f32_dpp v188, v12, v188 row_newbcast:4 row_mask:0xf bank_mask:0xf// 00000000644C: 0B7978FA FF01540C
	v_mul_f32_dpp v189, v12, v189 row_newbcast:5 row_mask:0xf bank_mask:0xf// 000000006454: 0B7B7AFA FF01550C
	v_mul_f32_dpp v190, v12, v190 row_newbcast:6 row_mask:0xf bank_mask:0xf// 00000000645C: 0B7D7CFA FF01560C
	v_mul_f32_dpp v191, v12, v191 row_newbcast:7 row_mask:0xf bank_mask:0xf// 000000006464: 0B7F7EFA FF01570C
	v_mul_f32_e32 v188, v21, v188                              // 00000000646C: 0B797915
	v_mul_f32_e32 v189, v21, v189                              // 000000006470: 0B7B7B15
	v_mul_f32_e32 v190, v21, v190                              // 000000006474: 0B7D7D15
	v_mul_f32_e32 v191, v21, v191                              // 000000006478: 0B7F7F15
	v_mul_f32_e32 v192, v24, v192                              // 00000000647C: 0B818118
	v_mul_f32_e32 v193, v24, v193                              // 000000006480: 0B838318
	v_mul_f32_e32 v194, v24, v194                              // 000000006484: 0B858518
	v_mul_f32_e32 v195, v24, v195                              // 000000006488: 0B878718
	v_mul_f32_dpp v192, v12, v192 row_newbcast:8 row_mask:0xf bank_mask:0xf// 00000000648C: 0B8180FA FF01580C
	v_mul_f32_dpp v193, v12, v193 row_newbcast:9 row_mask:0xf bank_mask:0xf// 000000006494: 0B8382FA FF01590C
	v_mul_f32_dpp v194, v12, v194 row_newbcast:10 row_mask:0xf bank_mask:0xf// 00000000649C: 0B8584FA FF015A0C
	v_mul_f32_dpp v195, v12, v195 row_newbcast:11 row_mask:0xf bank_mask:0xf// 0000000064A4: 0B8786FA FF015B0C
	v_mul_f32_e32 v192, v20, v192                              // 0000000064AC: 0B818114
	v_mul_f32_e32 v193, v20, v193                              // 0000000064B0: 0B838314
	v_mul_f32_e32 v194, v20, v194                              // 0000000064B4: 0B858514
	v_mul_f32_e32 v195, v20, v195                              // 0000000064B8: 0B878714
	v_mul_f32_e32 v196, v25, v196                              // 0000000064BC: 0B898919
	v_mul_f32_e32 v197, v25, v197                              // 0000000064C0: 0B8B8B19
	v_mul_f32_e32 v198, v25, v198                              // 0000000064C4: 0B8D8D19
	v_mul_f32_e32 v199, v25, v199                              // 0000000064C8: 0B8F8F19
	v_mul_f32_dpp v196, v12, v196 row_newbcast:8 row_mask:0xf bank_mask:0xf// 0000000064CC: 0B8988FA FF01580C
	v_mul_f32_dpp v197, v12, v197 row_newbcast:9 row_mask:0xf bank_mask:0xf// 0000000064D4: 0B8B8AFA FF01590C
	v_mul_f32_dpp v198, v12, v198 row_newbcast:10 row_mask:0xf bank_mask:0xf// 0000000064DC: 0B8D8CFA FF015A0C
	v_mul_f32_dpp v199, v12, v199 row_newbcast:11 row_mask:0xf bank_mask:0xf// 0000000064E4: 0B8F8EFA FF015B0C
	v_mul_f32_e32 v196, v21, v196                              // 0000000064EC: 0B898915
	v_mul_f32_e32 v197, v21, v197                              // 0000000064F0: 0B8B8B15
	v_mul_f32_e32 v198, v21, v198                              // 0000000064F4: 0B8D8D15
	v_mul_f32_e32 v199, v21, v199                              // 0000000064F8: 0B8F8F15
	v_mul_f32_e32 v200, v24, v200                              // 0000000064FC: 0B919118
	v_mul_f32_e32 v201, v24, v201                              // 000000006500: 0B939318
	v_mul_f32_e32 v202, v24, v202                              // 000000006504: 0B959518
	v_mul_f32_e32 v203, v24, v203                              // 000000006508: 0B979718
	v_mul_f32_dpp v200, v12, v200 row_newbcast:12 row_mask:0xf bank_mask:0xf// 00000000650C: 0B9190FA FF015C0C
	v_mul_f32_dpp v201, v12, v201 row_newbcast:13 row_mask:0xf bank_mask:0xf// 000000006514: 0B9392FA FF015D0C
	v_mul_f32_dpp v202, v12, v202 row_newbcast:14 row_mask:0xf bank_mask:0xf// 00000000651C: 0B9594FA FF015E0C
	v_mul_f32_dpp v203, v12, v203 row_newbcast:15 row_mask:0xf bank_mask:0xf// 000000006524: 0B9796FA FF015F0C
	v_mul_f32_e32 v200, v20, v200                              // 00000000652C: 0B919114
	v_mul_f32_e32 v201, v20, v201                              // 000000006530: 0B939314
	v_mul_f32_e32 v202, v20, v202                              // 000000006534: 0B959514
	v_mul_f32_e32 v203, v20, v203                              // 000000006538: 0B979714
	v_mul_f32_e32 v204, v25, v204                              // 00000000653C: 0B999919
	v_mul_f32_e32 v205, v25, v205                              // 000000006540: 0B9B9B19
	v_mul_f32_e32 v206, v25, v206                              // 000000006544: 0B9D9D19
	v_mul_f32_e32 v207, v25, v207                              // 000000006548: 0B9F9F19
	v_mul_f32_dpp v204, v12, v204 row_newbcast:12 row_mask:0xf bank_mask:0xf// 00000000654C: 0B9998FA FF015C0C
	v_mul_f32_dpp v205, v12, v205 row_newbcast:13 row_mask:0xf bank_mask:0xf// 000000006554: 0B9B9AFA FF015D0C
	v_mul_f32_dpp v206, v12, v206 row_newbcast:14 row_mask:0xf bank_mask:0xf// 00000000655C: 0B9D9CFA FF015E0C
	v_mul_f32_dpp v207, v12, v207 row_newbcast:15 row_mask:0xf bank_mask:0xf// 000000006564: 0B9F9EFA FF015F0C
	v_mul_f32_e32 v204, v21, v204                              // 00000000656C: 0B999915
	v_mul_f32_e32 v205, v21, v205                              // 000000006570: 0B9B9B15
	v_mul_f32_e32 v206, v21, v206                              // 000000006574: 0B9D9D15
	v_mul_f32_e32 v207, v21, v207                              // 000000006578: 0B9F9F15
	v_cmp_u_f32_e64 s[48:49], v176, v176                       // 00000000657C: D0480030 000361B0
	v_add3_u32 v44, v176, v47, 1                               // 000000006584: D1FF002C 02065FB0
	v_cndmask_b32_e64 v50, v44, v46, s[48:49]                  // 00000000658C: D1000032 00C25D2C
	v_cmp_u_f32_e64 s[48:49], v177, v177                       // 000000006594: D0480030 000363B1
	v_add3_u32 v44, v177, v47, 1                               // 00000000659C: D1FF002C 02065FB1
	v_cndmask_b32_e64 v51, v44, v46, s[48:49]                  // 0000000065A4: D1000033 00C25D2C
	v_perm_b32 v176, v51, v50, s52                             // 0000000065AC: D1ED00B0 00D26533
	v_cmp_u_f32_e64 s[48:49], v178, v178                       // 0000000065B4: D0480030 000365B2
	v_add3_u32 v44, v178, v47, 1                               // 0000000065BC: D1FF002C 02065FB2
	v_cndmask_b32_e64 v50, v44, v46, s[48:49]                  // 0000000065C4: D1000032 00C25D2C
	v_cmp_u_f32_e64 s[48:49], v179, v179                       // 0000000065CC: D0480030 000367B3
	v_add3_u32 v44, v179, v47, 1                               // 0000000065D4: D1FF002C 02065FB3
	v_cndmask_b32_e64 v51, v44, v46, s[48:49]                  // 0000000065DC: D1000033 00C25D2C
	v_perm_b32 v177, v51, v50, s52                             // 0000000065E4: D1ED00B1 00D26533
	v_cmp_u_f32_e64 s[48:49], v180, v180                       // 0000000065EC: D0480030 000369B4
	v_add3_u32 v44, v180, v47, 1                               // 0000000065F4: D1FF002C 02065FB4
	v_cndmask_b32_e64 v50, v44, v46, s[48:49]                  // 0000000065FC: D1000032 00C25D2C
	v_cmp_u_f32_e64 s[48:49], v181, v181                       // 000000006604: D0480030 00036BB5
	v_add3_u32 v44, v181, v47, 1                               // 00000000660C: D1FF002C 02065FB5
	v_cndmask_b32_e64 v51, v44, v46, s[48:49]                  // 000000006614: D1000033 00C25D2C
	v_perm_b32 v178, v51, v50, s52                             // 00000000661C: D1ED00B2 00D26533
	v_cmp_u_f32_e64 s[48:49], v182, v182                       // 000000006624: D0480030 00036DB6
	v_add3_u32 v44, v182, v47, 1                               // 00000000662C: D1FF002C 02065FB6
	v_cndmask_b32_e64 v50, v44, v46, s[48:49]                  // 000000006634: D1000032 00C25D2C
	v_cmp_u_f32_e64 s[48:49], v183, v183                       // 00000000663C: D0480030 00036FB7
	v_add3_u32 v44, v183, v47, 1                               // 000000006644: D1FF002C 02065FB7
	v_cndmask_b32_e64 v51, v44, v46, s[48:49]                  // 00000000664C: D1000033 00C25D2C
	v_perm_b32 v179, v51, v50, s52                             // 000000006654: D1ED00B3 00D26533
	v_cmp_u_f32_e64 s[48:49], v184, v184                       // 00000000665C: D0480030 000371B8
	v_add3_u32 v44, v184, v47, 1                               // 000000006664: D1FF002C 02065FB8
	v_cndmask_b32_e64 v50, v44, v46, s[48:49]                  // 00000000666C: D1000032 00C25D2C
	v_cmp_u_f32_e64 s[48:49], v185, v185                       // 000000006674: D0480030 000373B9
	v_add3_u32 v44, v185, v47, 1                               // 00000000667C: D1FF002C 02065FB9
	v_cndmask_b32_e64 v51, v44, v46, s[48:49]                  // 000000006684: D1000033 00C25D2C
	v_perm_b32 v180, v51, v50, s52                             // 00000000668C: D1ED00B4 00D26533
	v_cmp_u_f32_e64 s[48:49], v186, v186                       // 000000006694: D0480030 000375BA
	v_add3_u32 v44, v186, v47, 1                               // 00000000669C: D1FF002C 02065FBA
	v_cndmask_b32_e64 v50, v44, v46, s[48:49]                  // 0000000066A4: D1000032 00C25D2C
	v_cmp_u_f32_e64 s[48:49], v187, v187                       // 0000000066AC: D0480030 000377BB
	v_add3_u32 v44, v187, v47, 1                               // 0000000066B4: D1FF002C 02065FBB
	v_cndmask_b32_e64 v51, v44, v46, s[48:49]                  // 0000000066BC: D1000033 00C25D2C
	v_perm_b32 v181, v51, v50, s52                             // 0000000066C4: D1ED00B5 00D26533
	v_cmp_u_f32_e64 s[48:49], v188, v188                       // 0000000066CC: D0480030 000379BC
	v_add3_u32 v44, v188, v47, 1                               // 0000000066D4: D1FF002C 02065FBC
	v_cndmask_b32_e64 v50, v44, v46, s[48:49]                  // 0000000066DC: D1000032 00C25D2C
	v_cmp_u_f32_e64 s[48:49], v189, v189                       // 0000000066E4: D0480030 00037BBD
	v_add3_u32 v44, v189, v47, 1                               // 0000000066EC: D1FF002C 02065FBD
	v_cndmask_b32_e64 v51, v44, v46, s[48:49]                  // 0000000066F4: D1000033 00C25D2C
	v_perm_b32 v182, v51, v50, s52                             // 0000000066FC: D1ED00B6 00D26533
	v_cmp_u_f32_e64 s[48:49], v190, v190                       // 000000006704: D0480030 00037DBE
	v_add3_u32 v44, v190, v47, 1                               // 00000000670C: D1FF002C 02065FBE
	v_cndmask_b32_e64 v50, v44, v46, s[48:49]                  // 000000006714: D1000032 00C25D2C
	v_cmp_u_f32_e64 s[48:49], v191, v191                       // 00000000671C: D0480030 00037FBF
	v_add3_u32 v44, v191, v47, 1                               // 000000006724: D1FF002C 02065FBF
	v_cndmask_b32_e64 v51, v44, v46, s[48:49]                  // 00000000672C: D1000033 00C25D2C
	v_perm_b32 v183, v51, v50, s52                             // 000000006734: D1ED00B7 00D26533
	v_cmp_u_f32_e64 s[48:49], v192, v192                       // 00000000673C: D0480030 000381C0
	v_add3_u32 v44, v192, v47, 1                               // 000000006744: D1FF002C 02065FC0
	v_cndmask_b32_e64 v50, v44, v46, s[48:49]                  // 00000000674C: D1000032 00C25D2C
	v_cmp_u_f32_e64 s[48:49], v193, v193                       // 000000006754: D0480030 000383C1
	v_add3_u32 v44, v193, v47, 1                               // 00000000675C: D1FF002C 02065FC1
	v_cndmask_b32_e64 v51, v44, v46, s[48:49]                  // 000000006764: D1000033 00C25D2C
	v_perm_b32 v184, v51, v50, s52                             // 00000000676C: D1ED00B8 00D26533
	v_cmp_u_f32_e64 s[48:49], v194, v194                       // 000000006774: D0480030 000385C2
	v_add3_u32 v44, v194, v47, 1                               // 00000000677C: D1FF002C 02065FC2
	v_cndmask_b32_e64 v50, v44, v46, s[48:49]                  // 000000006784: D1000032 00C25D2C
	v_cmp_u_f32_e64 s[48:49], v195, v195                       // 00000000678C: D0480030 000387C3
	v_add3_u32 v44, v195, v47, 1                               // 000000006794: D1FF002C 02065FC3
	v_cndmask_b32_e64 v51, v44, v46, s[48:49]                  // 00000000679C: D1000033 00C25D2C
	v_perm_b32 v185, v51, v50, s52                             // 0000000067A4: D1ED00B9 00D26533
	v_cmp_u_f32_e64 s[48:49], v196, v196                       // 0000000067AC: D0480030 000389C4
	v_add3_u32 v44, v196, v47, 1                               // 0000000067B4: D1FF002C 02065FC4
	v_cndmask_b32_e64 v50, v44, v46, s[48:49]                  // 0000000067BC: D1000032 00C25D2C
	v_cmp_u_f32_e64 s[48:49], v197, v197                       // 0000000067C4: D0480030 00038BC5
	v_add3_u32 v44, v197, v47, 1                               // 0000000067CC: D1FF002C 02065FC5
	v_cndmask_b32_e64 v51, v44, v46, s[48:49]                  // 0000000067D4: D1000033 00C25D2C
	v_perm_b32 v186, v51, v50, s52                             // 0000000067DC: D1ED00BA 00D26533
	v_cmp_u_f32_e64 s[48:49], v198, v198                       // 0000000067E4: D0480030 00038DC6
	v_add3_u32 v44, v198, v47, 1                               // 0000000067EC: D1FF002C 02065FC6
	v_cndmask_b32_e64 v50, v44, v46, s[48:49]                  // 0000000067F4: D1000032 00C25D2C
	v_cmp_u_f32_e64 s[48:49], v199, v199                       // 0000000067FC: D0480030 00038FC7
	v_add3_u32 v44, v199, v47, 1                               // 000000006804: D1FF002C 02065FC7
	v_cndmask_b32_e64 v51, v44, v46, s[48:49]                  // 00000000680C: D1000033 00C25D2C
	v_perm_b32 v187, v51, v50, s52                             // 000000006814: D1ED00BB 00D26533
	v_cmp_u_f32_e64 s[48:49], v200, v200                       // 00000000681C: D0480030 000391C8
	v_add3_u32 v44, v200, v47, 1                               // 000000006824: D1FF002C 02065FC8
	v_cndmask_b32_e64 v50, v44, v46, s[48:49]                  // 00000000682C: D1000032 00C25D2C
	v_cmp_u_f32_e64 s[48:49], v201, v201                       // 000000006834: D0480030 000393C9
	v_add3_u32 v44, v201, v47, 1                               // 00000000683C: D1FF002C 02065FC9
	v_cndmask_b32_e64 v51, v44, v46, s[48:49]                  // 000000006844: D1000033 00C25D2C
	v_perm_b32 v188, v51, v50, s52                             // 00000000684C: D1ED00BC 00D26533
	v_cmp_u_f32_e64 s[48:49], v202, v202                       // 000000006854: D0480030 000395CA
	v_add3_u32 v44, v202, v47, 1                               // 00000000685C: D1FF002C 02065FCA
	v_cndmask_b32_e64 v50, v44, v46, s[48:49]                  // 000000006864: D1000032 00C25D2C
	v_cmp_u_f32_e64 s[48:49], v203, v203                       // 00000000686C: D0480030 000397CB
	v_add3_u32 v44, v203, v47, 1                               // 000000006874: D1FF002C 02065FCB
	v_cndmask_b32_e64 v51, v44, v46, s[48:49]                  // 00000000687C: D1000033 00C25D2C
	v_perm_b32 v189, v51, v50, s52                             // 000000006884: D1ED00BD 00D26533
	v_cmp_u_f32_e64 s[48:49], v204, v204                       // 00000000688C: D0480030 000399CC
	v_add3_u32 v44, v204, v47, 1                               // 000000006894: D1FF002C 02065FCC
	v_cndmask_b32_e64 v50, v44, v46, s[48:49]                  // 00000000689C: D1000032 00C25D2C
	v_cmp_u_f32_e64 s[48:49], v205, v205                       // 0000000068A4: D0480030 00039BCD
	v_add3_u32 v44, v205, v47, 1                               // 0000000068AC: D1FF002C 02065FCD
	v_cndmask_b32_e64 v51, v44, v46, s[48:49]                  // 0000000068B4: D1000033 00C25D2C
	v_perm_b32 v190, v51, v50, s52                             // 0000000068BC: D1ED00BE 00D26533
	v_cmp_u_f32_e64 s[48:49], v206, v206                       // 0000000068C4: D0480030 00039DCE
	v_add3_u32 v44, v206, v47, 1                               // 0000000068CC: D1FF002C 02065FCE
	v_cndmask_b32_e64 v50, v44, v46, s[48:49]                  // 0000000068D4: D1000032 00C25D2C
	v_cmp_u_f32_e64 s[48:49], v207, v207                       // 0000000068DC: D0480030 00039FCF
	v_add3_u32 v44, v207, v47, 1                               // 0000000068E4: D1FF002C 02065FCF
	v_cndmask_b32_e64 v51, v44, v46, s[48:49]                  // 0000000068EC: D1000033 00C25D2C
	v_perm_b32 v191, v51, v50, s52                             // 0000000068F4: D1ED00BF 00D26533
	s_cmp_ge_u32 s80, 0x200                                    // 0000000068FC: BF09FF50 00000200
	s_cselect_b32 s59, 0x200, s59                              // 000000006904: 853B3BFF 00000200
	s_setvskip s20, 0                                          // 00000000690C: BF108014
	global_atomic_pk_add_bf16 v80, v64, s[8:9]                 // 000000006910: DD488000 00084050
	s_setvskip 0, 0                                            // 000000006918: BF108080
	s_setvskip s20, 0                                          // 00000000691C: BF108014
	global_atomic_pk_add_bf16 v80, v65, s[8:9] offset:256      // 000000006920: DD488100 00084150
	s_setvskip 0, 0                                            // 000000006928: BF108080
	s_setvskip s20, 1                                          // 00000000692C: BF108114
	global_atomic_pk_add_bf16 v82, v66, s[8:9]                 // 000000006930: DD488000 00084252
	s_setvskip 0, 0                                            // 000000006938: BF108080
	s_setvskip s20, 1                                          // 00000000693C: BF108114
	global_atomic_pk_add_bf16 v82, v67, s[8:9] offset:256      // 000000006940: DD488100 00084352
	s_setvskip 0, 0                                            // 000000006948: BF108080
	s_setvskip s20, 2                                          // 00000000694C: BF108214
	global_atomic_pk_add_bf16 v84, v68, s[8:9]                 // 000000006950: DD488000 00084454
	s_setvskip 0, 0                                            // 000000006958: BF108080
	s_setvskip s20, 2                                          // 00000000695C: BF108214
	global_atomic_pk_add_bf16 v84, v69, s[8:9] offset:256      // 000000006960: DD488100 00084554
	s_setvskip 0, 0                                            // 000000006968: BF108080
	s_setvskip s20, 3                                          // 00000000696C: BF108314
	global_atomic_pk_add_bf16 v86, v70, s[8:9]                 // 000000006970: DD488000 00084656
	s_setvskip 0, 0                                            // 000000006978: BF108080
	s_setvskip s20, 3                                          // 00000000697C: BF108314
	global_atomic_pk_add_bf16 v86, v71, s[8:9] offset:256      // 000000006980: DD488100 00084756
	s_setvskip 0, 0                                            // 000000006988: BF108080
	s_setvskip s20, 4                                          // 00000000698C: BF108414
	global_atomic_pk_add_bf16 v88, v72, s[8:9]                 // 000000006990: DD488000 00084858
	s_setvskip 0, 0                                            // 000000006998: BF108080
	s_setvskip s20, 4                                          // 00000000699C: BF108414
	global_atomic_pk_add_bf16 v88, v73, s[8:9] offset:256      // 0000000069A0: DD488100 00084958
	s_setvskip 0, 0                                            // 0000000069A8: BF108080
	s_setvskip s20, 5                                          // 0000000069AC: BF108514
	global_atomic_pk_add_bf16 v90, v74, s[8:9]                 // 0000000069B0: DD488000 00084A5A
	s_setvskip 0, 0                                            // 0000000069B8: BF108080
	s_setvskip s20, 5                                          // 0000000069BC: BF108514
	global_atomic_pk_add_bf16 v90, v75, s[8:9] offset:256      // 0000000069C0: DD488100 00084B5A
	s_setvskip 0, 0                                            // 0000000069C8: BF108080
	s_setvskip s20, 6                                          // 0000000069CC: BF108614
	global_atomic_pk_add_bf16 v92, v76, s[8:9]                 // 0000000069D0: DD488000 00084C5C
	s_setvskip 0, 0                                            // 0000000069D8: BF108080
	s_setvskip s20, 6                                          // 0000000069DC: BF108614
	global_atomic_pk_add_bf16 v92, v77, s[8:9] offset:256      // 0000000069E0: DD488100 00084D5C
	s_setvskip 0, 0                                            // 0000000069E8: BF108080
	s_setvskip s20, 7                                          // 0000000069EC: BF108714
	global_atomic_pk_add_bf16 v94, v78, s[8:9]                 // 0000000069F0: DD488000 00084E5E
	s_setvskip 0, 0                                            // 0000000069F8: BF108080
	s_setvskip s20, 7                                          // 0000000069FC: BF108714
	global_atomic_pk_add_bf16 v94, v79, s[8:9] offset:256      // 000000006A00: DD488100 00084F5E
	s_setvskip 0, 0                                            // 000000006A08: BF108080
	s_add_u32 s8, s59, s8                                      // 000000006A0C: 8008083B
	s_addc_u32 s9, 0, s9                                       // 000000006A10: 82090980
	s_addk_i32 s80, 0x100                                      // 000000006A14: B7500100
	s_cmp_lt_i32 s80, s81                                      // 000000006A18: BF045150
	s_cbranch_scc0 label_11EF                                  // 000000006A1C: BF8402E7
	s_waitcnt vmcnt(21) lgkmcnt(0)                             // 000000006A20: BF8C4075
	s_barrier                                                  // 000000006A24: BF8A0000
	v_mfma_f32_16x16x32_fp8_fp8 v[208:211], a[96:97], v[128:129], 0// 000000006A28: D3F300D0 0A030160
	ds_read_b32 v64, v4 offset:36096                           // 000000006A30: D86C8D00 40000004
	ds_read_b32 v65, v4 offset:40448                           // 000000006A38: D86C9E00 41000004
	v_mfma_f32_16x16x32_fp8_fp8 v[208:211], a[98:99], v[130:131], v[208:211]// 000000006A40: D3F300D0 0F430562
	buffer_load_dwordx4 a[0:3], v40, s[12:15], 0 offen         // 000000006A48: E05C1000 80830028
	v_mfma_f32_16x16x32_fp8_fp8 v[212:215], a[96:97], v[152:153], 0// 000000006A50: D3F300D4 0A033160
	ds_read_b32 v66, v4 offset:36128                           // 000000006A58: D86C8D20 42000004
	ds_read_b32 v67, v4 offset:40480                           // 000000006A60: D86C9E20 43000004
	v_mfma_f32_16x16x32_fp8_fp8 v[212:215], a[98:99], v[154:155], v[212:215]// 000000006A68: D3F300D4 0F533562
	v_mfma_f32_16x16x32_fp8_fp8 v[216:219], a[100:101], v[128:129], 0// 000000006A70: D3F300D8 0A030164
	ds_read_b32 v68, v4 offset:36160                           // 000000006A78: D86C8D40 44000004
	ds_read_b32 v69, v4 offset:40512                           // 000000006A80: D86C9E40 45000004
	v_mfma_f32_16x16x32_fp8_fp8 v[216:219], a[102:103], v[130:131], v[216:219]// 000000006A88: D3F300D8 0F630566
	buffer_load_dwordx4 a[4:7], v41, s[12:15], 0 offen         // 000000006A90: E05C1000 80830429
	v_mfma_f32_16x16x32_fp8_fp8 v[220:223], a[100:101], v[152:153], 0// 000000006A98: D3F300DC 0A033164
	ds_read_b32 v70, v4 offset:36192                           // 000000006AA0: D86C8D60 46000004
	ds_read_b32 v71, v4 offset:40544                           // 000000006AA8: D86C9E60 47000004
	v_mfma_f32_16x16x32_fp8_fp8 v[220:223], a[102:103], v[154:155], v[220:223]// 000000006AB0: D3F300DC 0F733566
	v_mfma_f32_16x16x32_fp8_fp8 v[224:227], a[104:105], v[128:129], 0// 000000006AB8: D3F300E0 0A030168
	ds_read_b32 v72, v4 offset:44800                           // 000000006AC0: D86CAF00 48000004
	ds_read_b32 v73, v4 offset:49152                           // 000000006AC8: D86CC000 49000004
	v_mfma_f32_16x16x32_fp8_fp8 v[224:227], a[106:107], v[130:131], v[224:227]// 000000006AD0: D3F300E0 0F83056A
	buffer_load_dwordx4 a[8:11], v42, s[12:15], 0 offen        // 000000006AD8: E05C1000 8083082A
	v_mfma_f32_16x16x32_fp8_fp8 v[228:231], a[104:105], v[152:153], 0// 000000006AE0: D3F300E4 0A033168
	ds_read_b32 v74, v4 offset:44832                           // 000000006AE8: D86CAF20 4A000004
	ds_read_b32 v75, v4 offset:49184                           // 000000006AF0: D86CC020 4B000004
	v_mfma_f32_16x16x32_fp8_fp8 v[228:231], a[106:107], v[154:155], v[228:231]// 000000006AF8: D3F300E4 0F93356A
	v_mfma_f32_16x16x32_fp8_fp8 v[232:235], a[108:109], v[128:129], 0// 000000006B00: D3F300E8 0A03016C
	ds_read_b32 v76, v4 offset:44864                           // 000000006B08: D86CAF40 4C000004
	ds_read_b32 v77, v4 offset:49216                           // 000000006B10: D86CC040 4D000004
	v_mfma_f32_16x16x32_fp8_fp8 v[232:235], a[110:111], v[130:131], v[232:235]// 000000006B18: D3F300E8 0FA3056E
	buffer_load_dwordx4 a[12:15], v43, s[12:15], 0 offen       // 000000006B20: E05C1000 80830C2B
	s_add_u32 s12, s78, s12                                    // 000000006B28: 800C0C4E
	s_addc_u32 s13, 0, s13                                     // 000000006B2C: 820D0D80
	v_mfma_f32_16x16x32_fp8_fp8 v[236:239], a[108:109], v[152:153], 0// 000000006B30: D3F300EC 0A03316C
	ds_read_b32 v78, v4 offset:44896                           // 000000006B38: D86CAF60 4E000004
	ds_read_b32 v79, v4 offset:49248                           // 000000006B40: D86CC060 4F000004
	v_mfma_f32_16x16x32_fp8_fp8 v[236:239], a[110:111], v[154:155], v[236:239]// 000000006B48: D3F300EC 0FB3356E
	s_waitcnt vmcnt(21)                                        // 000000006B50: BF8C4F75
	v_mfma_f32_16x16x32_fp8_fp8 v[208:211], a[112:113], v[132:133], v[208:211]// 000000006B54: D3F300D0 0F430970
	v_mfma_f32_16x16x32_fp8_fp8 v[208:211], a[114:115], v[134:135], v[208:211]// 000000006B5C: D3F300D0 0F430D72
	buffer_load_dwordx4 a[16:19], v40, s[12:15], 0 offen       // 000000006B64: E05C1000 80831028
	v_mfma_f32_16x16x32_fp8_fp8 v[212:215], a[112:113], v[156:157], v[212:215]// 000000006B6C: D3F300D4 0F533970
	v_mfma_f32_16x16x32_fp8_fp8 v[212:215], a[114:115], v[158:159], v[212:215]// 000000006B74: D3F300D4 0F533D72
	v_mfma_f32_16x16x32_fp8_fp8 v[216:219], a[116:117], v[132:133], v[216:219]// 000000006B7C: D3F300D8 0F630974
	v_mfma_f32_16x16x32_fp8_fp8 v[216:219], a[118:119], v[134:135], v[216:219]// 000000006B84: D3F300D8 0F630D76
	buffer_load_dwordx4 a[20:23], v41, s[12:15], 0 offen       // 000000006B8C: E05C1000 80831429
	v_mfma_f32_16x16x32_fp8_fp8 v[220:223], a[116:117], v[156:157], v[220:223]// 000000006B94: D3F300DC 0F733974
	v_mfma_f32_16x16x32_fp8_fp8 v[220:223], a[118:119], v[158:159], v[220:223]// 000000006B9C: D3F300DC 0F733D76
	v_mfma_f32_16x16x32_fp8_fp8 v[224:227], a[120:121], v[132:133], v[224:227]// 000000006BA4: D3F300E0 0F830978
	v_mfma_f32_16x16x32_fp8_fp8 v[224:227], a[122:123], v[134:135], v[224:227]// 000000006BAC: D3F300E0 0F830D7A
	buffer_load_dwordx4 a[24:27], v42, s[12:15], 0 offen       // 000000006BB4: E05C1000 8083182A
	v_mfma_f32_16x16x32_fp8_fp8 v[228:231], a[120:121], v[156:157], v[228:231]// 000000006BBC: D3F300E4 0F933978
	v_mfma_f32_16x16x32_fp8_fp8 v[228:231], a[122:123], v[158:159], v[228:231]// 000000006BC4: D3F300E4 0F933D7A
	v_mfma_f32_16x16x32_fp8_fp8 v[232:235], a[124:125], v[132:133], v[232:235]// 000000006BCC: D3F300E8 0FA3097C
	v_mfma_f32_16x16x32_fp8_fp8 v[232:235], a[126:127], v[134:135], v[232:235]// 000000006BD4: D3F300E8 0FA30D7E
	buffer_load_dwordx4 a[28:31], v43, s[12:15], 0 offen       // 000000006BDC: E05C1000 80831C2B
	s_add_u32 s12, s78, s12                                    // 000000006BE4: 800C0C4E
	s_addc_u32 s13, 0, s13                                     // 000000006BE8: 820D0D80
	v_mfma_f32_16x16x32_fp8_fp8 v[236:239], a[124:125], v[156:157], v[236:239]// 000000006BEC: D3F300EC 0FB3397C
	v_mfma_f32_16x16x32_fp8_fp8 v[236:239], a[126:127], v[158:159], v[236:239]// 000000006BF4: D3F300EC 0FB33D7E
	s_waitcnt vmcnt(21)                                        // 000000006BFC: BF8C4F75
	v_mfma_f32_16x16x32_fp8_fp8 v[208:211], a[128:129], v[136:137], v[208:211]// 000000006C00: D3F300D0 0F431180
	ds_write_b64 v3, v[176:177] offset:18688                   // 000000006C08: D89A4900 0000B003
	v_mfma_f32_16x16x32_fp8_fp8 v[208:211], a[130:131], v[138:139], v[208:211]// 000000006C10: D3F300D0 0F431582
	buffer_load_dwordx4 a[32:35], v40, s[12:15], 0 offen       // 000000006C18: E05C1000 80832028
	v_mfma_f32_16x16x32_fp8_fp8 v[212:215], a[128:129], v[160:161], v[212:215]// 000000006C20: D3F300D4 0F534180
	ds_write_b64 v3, v[178:179] offset:27392                   // 000000006C28: D89A6B00 0000B203
	v_mfma_f32_16x16x32_fp8_fp8 v[212:215], a[130:131], v[162:163], v[212:215]// 000000006C30: D3F300D4 0F534582
	v_mfma_f32_16x16x32_fp8_fp8 v[216:219], a[132:133], v[136:137], v[216:219]// 000000006C38: D3F300D8 0F631184
	ds_write_b64 v3, v[180:181] offset:20864                   // 000000006C40: D89A5180 0000B403
	v_mfma_f32_16x16x32_fp8_fp8 v[216:219], a[134:135], v[138:139], v[216:219]// 000000006C48: D3F300D8 0F631586
	buffer_load_dwordx4 a[36:39], v41, s[12:15], 0 offen       // 000000006C50: E05C1000 80832429
	v_mfma_f32_16x16x32_fp8_fp8 v[220:223], a[132:133], v[160:161], v[220:223]// 000000006C58: D3F300DC 0F734184
	ds_write_b64 v3, v[182:183] offset:29568                   // 000000006C60: D89A7380 0000B603
	v_mfma_f32_16x16x32_fp8_fp8 v[220:223], a[134:135], v[162:163], v[220:223]// 000000006C68: D3F300DC 0F734586
	v_mfma_f32_16x16x32_fp8_fp8 v[224:227], a[136:137], v[136:137], v[224:227]// 000000006C70: D3F300E0 0F831188
	ds_write_b64 v3, v[184:185] offset:23040                   // 000000006C78: D89A5A00 0000B803
	v_mfma_f32_16x16x32_fp8_fp8 v[224:227], a[138:139], v[138:139], v[224:227]// 000000006C80: D3F300E0 0F83158A
	buffer_load_dwordx4 a[40:43], v42, s[12:15], 0 offen       // 000000006C88: E05C1000 8083282A
	v_mfma_f32_16x16x32_fp8_fp8 v[228:231], a[136:137], v[160:161], v[228:231]// 000000006C90: D3F300E4 0F934188
	ds_write_b64 v3, v[186:187] offset:31744                   // 000000006C98: D89A7C00 0000BA03
	v_mfma_f32_16x16x32_fp8_fp8 v[228:231], a[138:139], v[162:163], v[228:231]// 000000006CA0: D3F300E4 0F93458A
	v_mfma_f32_16x16x32_fp8_fp8 v[232:235], a[140:141], v[136:137], v[232:235]// 000000006CA8: D3F300E8 0FA3118C
	ds_write_b64 v3, v[188:189] offset:25216                   // 000000006CB0: D89A6280 0000BC03
	v_mfma_f32_16x16x32_fp8_fp8 v[232:235], a[142:143], v[138:139], v[232:235]// 000000006CB8: D3F300E8 0FA3158E
	buffer_load_dwordx4 a[44:47], v43, s[12:15], 0 offen       // 000000006CC0: E05C1000 80832C2B
	s_add_u32 s12, s78, s12                                    // 000000006CC8: 800C0C4E
	s_addc_u32 s13, 0, s13                                     // 000000006CCC: 820D0D80
	v_mfma_f32_16x16x32_fp8_fp8 v[236:239], a[140:141], v[160:161], v[236:239]// 000000006CD0: D3F300EC 0FB3418C
	ds_write_b64 v3, v[190:191] offset:33920                   // 000000006CD8: D89A8480 0000BE03
	v_mfma_f32_16x16x32_fp8_fp8 v[236:239], a[142:143], v[162:163], v[236:239]// 000000006CE0: D3F300EC 0FB3458E
	s_waitcnt vmcnt(21)                                        // 000000006CE8: BF8C4F75
	v_mfma_f32_16x16x32_fp8_fp8 v[208:211], a[144:145], v[140:141], v[208:211]// 000000006CEC: D3F300D0 0F431990
	v_mfma_f32_16x16x32_fp8_fp8 v[208:211], a[146:147], v[142:143], v[208:211]// 000000006CF4: D3F300D0 0F431D92
	buffer_load_dwordx4 a[48:51], v40, s[12:15], 0 offen       // 000000006CFC: E05C1000 80833028
	v_mfma_f32_16x16x32_fp8_fp8 v[212:215], a[144:145], v[164:165], v[212:215]// 000000006D04: D3F300D4 0F534990
	v_mfma_f32_16x16x32_fp8_fp8 v[212:215], a[146:147], v[166:167], v[212:215]// 000000006D0C: D3F300D4 0F534D92
	v_mfma_f32_16x16x32_fp8_fp8 v[216:219], a[148:149], v[140:141], v[216:219]// 000000006D14: D3F300D8 0F631994
	v_mfma_f32_16x16x32_fp8_fp8 v[216:219], a[150:151], v[142:143], v[216:219]// 000000006D1C: D3F300D8 0F631D96
	buffer_load_dwordx4 a[52:55], v41, s[12:15], 0 offen       // 000000006D24: E05C1000 80833429
	v_mfma_f32_16x16x32_fp8_fp8 v[220:223], a[148:149], v[164:165], v[220:223]// 000000006D2C: D3F300DC 0F734994
	v_mfma_f32_16x16x32_fp8_fp8 v[220:223], a[150:151], v[166:167], v[220:223]// 000000006D34: D3F300DC 0F734D96
	v_mfma_f32_16x16x32_fp8_fp8 v[224:227], a[152:153], v[140:141], v[224:227]// 000000006D3C: D3F300E0 0F831998
	v_mfma_f32_16x16x32_fp8_fp8 v[224:227], a[154:155], v[142:143], v[224:227]// 000000006D44: D3F300E0 0F831D9A
	buffer_load_dwordx4 a[56:59], v42, s[12:15], 0 offen       // 000000006D4C: E05C1000 8083382A
	v_mfma_f32_16x16x32_fp8_fp8 v[228:231], a[152:153], v[164:165], v[228:231]// 000000006D54: D3F300E4 0F934998
	v_mfma_f32_16x16x32_fp8_fp8 v[228:231], a[154:155], v[166:167], v[228:231]// 000000006D5C: D3F300E4 0F934D9A
	v_mfma_f32_16x16x32_fp8_fp8 v[232:235], a[156:157], v[140:141], v[232:235]// 000000006D64: D3F300E8 0FA3199C
	v_mfma_f32_16x16x32_fp8_fp8 v[232:235], a[158:159], v[142:143], v[232:235]// 000000006D6C: D3F300E8 0FA31D9E
	buffer_load_dwordx4 a[60:63], v43, s[12:15], 0 offen       // 000000006D74: E05C1000 80833C2B
	s_add_u32 s12, s78, s12                                    // 000000006D7C: 800C0C4E
	s_addc_u32 s13, 0, s13                                     // 000000006D80: 820D0D80
	v_mfma_f32_16x16x32_fp8_fp8 v[236:239], a[156:157], v[164:165], v[236:239]// 000000006D84: D3F300EC 0FB3499C
	v_mfma_f32_16x16x32_fp8_fp8 v[236:239], a[158:159], v[166:167], v[236:239]// 000000006D8C: D3F300EC 0FB34D9E
	s_waitcnt vmcnt(21)                                        // 000000006D94: BF8C4F75
	v_mfma_f32_16x16x32_fp8_fp8 v[208:211], a[160:161], v[144:145], v[208:211]// 000000006D98: D3F300D0 0F4321A0
	v_mfma_f32_16x16x32_fp8_fp8 v[208:211], a[162:163], v[146:147], v[208:211]// 000000006DA0: D3F300D0 0F4325A2
	buffer_load_dwordx4 a[64:67], v40, s[12:15], 0 offen       // 000000006DA8: E05C1000 80834028
	v_mfma_f32_16x16x32_fp8_fp8 v[212:215], a[160:161], v[168:169], v[212:215]// 000000006DB0: D3F300D4 0F5351A0
	v_mfma_f32_16x16x32_fp8_fp8 v[212:215], a[162:163], v[170:171], v[212:215]// 000000006DB8: D3F300D4 0F5355A2
	v_mfma_f32_16x16x32_fp8_fp8 v[216:219], a[164:165], v[144:145], v[216:219]// 000000006DC0: D3F300D8 0F6321A4
	v_mfma_f32_16x16x32_fp8_fp8 v[216:219], a[166:167], v[146:147], v[216:219]// 000000006DC8: D3F300D8 0F6325A6
	buffer_load_dwordx4 a[68:71], v41, s[12:15], 0 offen       // 000000006DD0: E05C1000 80834429
	v_mfma_f32_16x16x32_fp8_fp8 v[220:223], a[164:165], v[168:169], v[220:223]// 000000006DD8: D3F300DC 0F7351A4
	v_mfma_f32_16x16x32_fp8_fp8 v[220:223], a[166:167], v[170:171], v[220:223]// 000000006DE0: D3F300DC 0F7355A6
	v_mfma_f32_16x16x32_fp8_fp8 v[224:227], a[168:169], v[144:145], v[224:227]// 000000006DE8: D3F300E0 0F8321A8
	v_mfma_f32_16x16x32_fp8_fp8 v[224:227], a[170:171], v[146:147], v[224:227]// 000000006DF0: D3F300E0 0F8325AA
	buffer_load_dwordx4 a[72:75], v42, s[12:15], 0 offen       // 000000006DF8: E05C1000 8083482A
	v_mfma_f32_16x16x32_fp8_fp8 v[228:231], a[168:169], v[168:169], v[228:231]// 000000006E00: D3F300E4 0F9351A8
	v_mfma_f32_16x16x32_fp8_fp8 v[228:231], a[170:171], v[170:171], v[228:231]// 000000006E08: D3F300E4 0F9355AA
	v_mfma_f32_16x16x32_fp8_fp8 v[232:235], a[172:173], v[144:145], v[232:235]// 000000006E10: D3F300E8 0FA321AC
	v_mfma_f32_16x16x32_fp8_fp8 v[232:235], a[174:175], v[146:147], v[232:235]// 000000006E18: D3F300E8 0FA325AE
	buffer_load_dwordx4 a[76:79], v43, s[12:15], 0 offen       // 000000006E20: E05C1000 80834C2B
	s_add_u32 s12, s78, s12                                    // 000000006E28: 800C0C4E
	s_addc_u32 s13, 0, s13                                     // 000000006E2C: 820D0D80
	v_mfma_f32_16x16x32_fp8_fp8 v[236:239], a[172:173], v[168:169], v[236:239]// 000000006E30: D3F300EC 0FB351AC
	v_mfma_f32_16x16x32_fp8_fp8 v[236:239], a[174:175], v[170:171], v[236:239]// 000000006E38: D3F300EC 0FB355AE
	s_waitcnt vmcnt(20)                                        // 000000006E40: BF8C4F74
	v_mfma_f32_16x16x32_fp8_fp8 v[208:211], a[176:177], v[148:149], v[208:211]// 000000006E44: D3F300D0 0F4329B0
	v_mfma_f32_16x16x32_fp8_fp8 v[208:211], a[178:179], v[150:151], v[208:211]// 000000006E4C: D3F300D0 0F432DB2
	buffer_load_dwordx4 a[80:83], v40, s[12:15], 0 offen       // 000000006E54: E05C1000 80835028
	v_mfma_f32_16x16x32_fp8_fp8 v[212:215], a[176:177], v[172:173], v[212:215]// 000000006E5C: D3F300D4 0F5359B0
	v_mfma_f32_16x16x32_fp8_fp8 v[212:215], a[178:179], v[174:175], v[212:215]// 000000006E64: D3F300D4 0F535DB2
	buffer_load_dword v12, v5, s[16:19], 0 offen               // 000000006E6C: E0501000 80040C05
	v_mfma_f32_16x16x32_fp8_fp8 v[216:219], a[180:181], v[148:149], v[216:219]// 000000006E74: D3F300D8 0F6329B4
	v_mfma_f32_16x16x32_fp8_fp8 v[216:219], a[182:183], v[150:151], v[216:219]// 000000006E7C: D3F300D8 0F632DB6
	buffer_load_dwordx4 a[84:87], v41, s[12:15], 0 offen       // 000000006E84: E05C1000 80835429
	v_mfma_f32_16x16x32_fp8_fp8 v[220:223], a[180:181], v[172:173], v[220:223]// 000000006E8C: D3F300DC 0F7359B4
	v_mfma_f32_16x16x32_fp8_fp8 v[220:223], a[182:183], v[174:175], v[220:223]// 000000006E94: D3F300DC 0F735DB6
	v_mfma_f32_16x16x32_fp8_fp8 v[224:227], a[184:185], v[148:149], v[224:227]// 000000006E9C: D3F300E0 0F8329B8
	v_mfma_f32_16x16x32_fp8_fp8 v[224:227], a[186:187], v[150:151], v[224:227]// 000000006EA4: D3F300E0 0F832DBA
	buffer_load_dwordx4 a[88:91], v42, s[12:15], 0 offen       // 000000006EAC: E05C1000 8083582A
	v_mfma_f32_16x16x32_fp8_fp8 v[228:231], a[184:185], v[172:173], v[228:231]// 000000006EB4: D3F300E4 0F9359B8
	v_mfma_f32_16x16x32_fp8_fp8 v[228:231], a[186:187], v[174:175], v[228:231]// 000000006EBC: D3F300E4 0F935DBA
	v_mfma_f32_16x16x32_fp8_fp8 v[232:235], a[188:189], v[148:149], v[232:235]// 000000006EC4: D3F300E8 0FA329BC
	v_mfma_f32_16x16x32_fp8_fp8 v[232:235], a[190:191], v[150:151], v[232:235]// 000000006ECC: D3F300E8 0FA32DBE
	buffer_load_dwordx4 a[92:95], v43, s[12:15], 0 offen       // 000000006ED4: E05C1000 80835C2B
	v_mfma_f32_16x16x32_fp8_fp8 v[236:239], a[188:189], v[172:173], v[236:239]// 000000006EDC: D3F300EC 0FB359BC
	v_mfma_f32_16x16x32_fp8_fp8 v[236:239], a[190:191], v[174:175], v[236:239]// 000000006EE4: D3F300EC 0FB35DBE
	s_add_u32 s60, 0x200, s80                                  // 000000006EEC: 803C50FF 00000200
	s_cmp_lt_u32 s60, s81                                      // 000000006EF4: BF0A513C
	s_cselect_b32 s56, s56, 0                                  // 000000006EF8: 85388038
	s_cselect_b32 s78, s78, 0                                  // 000000006EFC: 854E804E
	s_cselect_b32 s79, s79, 0                                  // 000000006F00: 854F804F
	s_add_u32 s12, s56, s12                                    // 000000006F04: 800C0C38
	s_addc_u32 s13, 0, s13                                     // 000000006F08: 820D0D80
	s_add_u32 s16, s79, s16                                    // 000000006F0C: 8010104F
	s_addc_u32 s17, 0, s17                                     // 000000006F10: 82111180
	v_mul_f32_e32 v208, v24, v208                              // 000000006F14: 0BA1A118
	v_mul_f32_e32 v209, v24, v209                              // 000000006F18: 0BA3A318
	v_mul_f32_e32 v210, v24, v210                              // 000000006F1C: 0BA5A518
	v_mul_f32_e32 v211, v24, v211                              // 000000006F20: 0BA7A718
	v_mul_f32_dpp v208, v13, v208 row_newbcast:0 row_mask:0xf bank_mask:0xf// 000000006F24: 0BA1A0FA FF01500D
	v_mul_f32_dpp v209, v13, v209 row_newbcast:1 row_mask:0xf bank_mask:0xf// 000000006F2C: 0BA3A2FA FF01510D
	v_mul_f32_dpp v210, v13, v210 row_newbcast:2 row_mask:0xf bank_mask:0xf// 000000006F34: 0BA5A4FA FF01520D
	v_mul_f32_dpp v211, v13, v211 row_newbcast:3 row_mask:0xf bank_mask:0xf// 000000006F3C: 0BA7A6FA FF01530D
	v_mul_f32_e32 v208, v20, v208                              // 000000006F44: 0BA1A114
	v_mul_f32_e32 v209, v20, v209                              // 000000006F48: 0BA3A314
	v_mul_f32_e32 v210, v20, v210                              // 000000006F4C: 0BA5A514
	v_mul_f32_e32 v211, v20, v211                              // 000000006F50: 0BA7A714
	v_mul_f32_e32 v212, v25, v212                              // 000000006F54: 0BA9A919
	v_mul_f32_e32 v213, v25, v213                              // 000000006F58: 0BABAB19
	v_mul_f32_e32 v214, v25, v214                              // 000000006F5C: 0BADAD19
	v_mul_f32_e32 v215, v25, v215                              // 000000006F60: 0BAFAF19
	v_mul_f32_dpp v212, v13, v212 row_newbcast:0 row_mask:0xf bank_mask:0xf// 000000006F64: 0BA9A8FA FF01500D
	v_mul_f32_dpp v213, v13, v213 row_newbcast:1 row_mask:0xf bank_mask:0xf// 000000006F6C: 0BABAAFA FF01510D
	v_mul_f32_dpp v214, v13, v214 row_newbcast:2 row_mask:0xf bank_mask:0xf// 000000006F74: 0BADACFA FF01520D
	v_mul_f32_dpp v215, v13, v215 row_newbcast:3 row_mask:0xf bank_mask:0xf// 000000006F7C: 0BAFAEFA FF01530D
	v_mul_f32_e32 v212, v21, v212                              // 000000006F84: 0BA9A915
	v_mul_f32_e32 v213, v21, v213                              // 000000006F88: 0BABAB15
	v_mul_f32_e32 v214, v21, v214                              // 000000006F8C: 0BADAD15
	v_mul_f32_e32 v215, v21, v215                              // 000000006F90: 0BAFAF15
	v_mul_f32_e32 v216, v24, v216                              // 000000006F94: 0BB1B118
	v_mul_f32_e32 v217, v24, v217                              // 000000006F98: 0BB3B318
	v_mul_f32_e32 v218, v24, v218                              // 000000006F9C: 0BB5B518
	v_mul_f32_e32 v219, v24, v219                              // 000000006FA0: 0BB7B718
	v_mul_f32_dpp v216, v13, v216 row_newbcast:4 row_mask:0xf bank_mask:0xf// 000000006FA4: 0BB1B0FA FF01540D
	v_mul_f32_dpp v217, v13, v217 row_newbcast:5 row_mask:0xf bank_mask:0xf// 000000006FAC: 0BB3B2FA FF01550D
	v_mul_f32_dpp v218, v13, v218 row_newbcast:6 row_mask:0xf bank_mask:0xf// 000000006FB4: 0BB5B4FA FF01560D
	v_mul_f32_dpp v219, v13, v219 row_newbcast:7 row_mask:0xf bank_mask:0xf// 000000006FBC: 0BB7B6FA FF01570D
	v_mul_f32_e32 v216, v20, v216                              // 000000006FC4: 0BB1B114
	v_mul_f32_e32 v217, v20, v217                              // 000000006FC8: 0BB3B314
	v_mul_f32_e32 v218, v20, v218                              // 000000006FCC: 0BB5B514
	v_mul_f32_e32 v219, v20, v219                              // 000000006FD0: 0BB7B714
	v_mul_f32_e32 v220, v25, v220                              // 000000006FD4: 0BB9B919
	v_mul_f32_e32 v221, v25, v221                              // 000000006FD8: 0BBBBB19
	v_mul_f32_e32 v222, v25, v222                              // 000000006FDC: 0BBDBD19
	v_mul_f32_e32 v223, v25, v223                              // 000000006FE0: 0BBFBF19
	v_mul_f32_dpp v220, v13, v220 row_newbcast:4 row_mask:0xf bank_mask:0xf// 000000006FE4: 0BB9B8FA FF01540D
	v_mul_f32_dpp v221, v13, v221 row_newbcast:5 row_mask:0xf bank_mask:0xf// 000000006FEC: 0BBBBAFA FF01550D
	v_mul_f32_dpp v222, v13, v222 row_newbcast:6 row_mask:0xf bank_mask:0xf// 000000006FF4: 0BBDBCFA FF01560D
	v_mul_f32_dpp v223, v13, v223 row_newbcast:7 row_mask:0xf bank_mask:0xf// 000000006FFC: 0BBFBEFA FF01570D
	v_mul_f32_e32 v220, v21, v220                              // 000000007004: 0BB9B915
	v_mul_f32_e32 v221, v21, v221                              // 000000007008: 0BBBBB15
	v_mul_f32_e32 v222, v21, v222                              // 00000000700C: 0BBDBD15
	v_mul_f32_e32 v223, v21, v223                              // 000000007010: 0BBFBF15
	v_mul_f32_e32 v224, v24, v224                              // 000000007014: 0BC1C118
	v_mul_f32_e32 v225, v24, v225                              // 000000007018: 0BC3C318
	v_mul_f32_e32 v226, v24, v226                              // 00000000701C: 0BC5C518
	v_mul_f32_e32 v227, v24, v227                              // 000000007020: 0BC7C718
	v_mul_f32_dpp v224, v13, v224 row_newbcast:8 row_mask:0xf bank_mask:0xf// 000000007024: 0BC1C0FA FF01580D
	v_mul_f32_dpp v225, v13, v225 row_newbcast:9 row_mask:0xf bank_mask:0xf// 00000000702C: 0BC3C2FA FF01590D
	v_mul_f32_dpp v226, v13, v226 row_newbcast:10 row_mask:0xf bank_mask:0xf// 000000007034: 0BC5C4FA FF015A0D
	v_mul_f32_dpp v227, v13, v227 row_newbcast:11 row_mask:0xf bank_mask:0xf// 00000000703C: 0BC7C6FA FF015B0D
	v_mul_f32_e32 v224, v20, v224                              // 000000007044: 0BC1C114
	v_mul_f32_e32 v225, v20, v225                              // 000000007048: 0BC3C314
	v_mul_f32_e32 v226, v20, v226                              // 00000000704C: 0BC5C514
	v_mul_f32_e32 v227, v20, v227                              // 000000007050: 0BC7C714
	v_mul_f32_e32 v228, v25, v228                              // 000000007054: 0BC9C919
	v_mul_f32_e32 v229, v25, v229                              // 000000007058: 0BCBCB19
	v_mul_f32_e32 v230, v25, v230                              // 00000000705C: 0BCDCD19
	v_mul_f32_e32 v231, v25, v231                              // 000000007060: 0BCFCF19
	v_mul_f32_dpp v228, v13, v228 row_newbcast:8 row_mask:0xf bank_mask:0xf// 000000007064: 0BC9C8FA FF01580D
	v_mul_f32_dpp v229, v13, v229 row_newbcast:9 row_mask:0xf bank_mask:0xf// 00000000706C: 0BCBCAFA FF01590D
	v_mul_f32_dpp v230, v13, v230 row_newbcast:10 row_mask:0xf bank_mask:0xf// 000000007074: 0BCDCCFA FF015A0D
	v_mul_f32_dpp v231, v13, v231 row_newbcast:11 row_mask:0xf bank_mask:0xf// 00000000707C: 0BCFCEFA FF015B0D
	v_mul_f32_e32 v228, v21, v228                              // 000000007084: 0BC9C915
	v_mul_f32_e32 v229, v21, v229                              // 000000007088: 0BCBCB15
	v_mul_f32_e32 v230, v21, v230                              // 00000000708C: 0BCDCD15
	v_mul_f32_e32 v231, v21, v231                              // 000000007090: 0BCFCF15
	v_mul_f32_e32 v232, v24, v232                              // 000000007094: 0BD1D118
	v_mul_f32_e32 v233, v24, v233                              // 000000007098: 0BD3D318
	v_mul_f32_e32 v234, v24, v234                              // 00000000709C: 0BD5D518
	v_mul_f32_e32 v235, v24, v235                              // 0000000070A0: 0BD7D718
	v_mul_f32_dpp v232, v13, v232 row_newbcast:12 row_mask:0xf bank_mask:0xf// 0000000070A4: 0BD1D0FA FF015C0D
	v_mul_f32_dpp v233, v13, v233 row_newbcast:13 row_mask:0xf bank_mask:0xf// 0000000070AC: 0BD3D2FA FF015D0D
	v_mul_f32_dpp v234, v13, v234 row_newbcast:14 row_mask:0xf bank_mask:0xf// 0000000070B4: 0BD5D4FA FF015E0D
	v_mul_f32_dpp v235, v13, v235 row_newbcast:15 row_mask:0xf bank_mask:0xf// 0000000070BC: 0BD7D6FA FF015F0D
	v_mul_f32_e32 v232, v20, v232                              // 0000000070C4: 0BD1D114
	v_mul_f32_e32 v233, v20, v233                              // 0000000070C8: 0BD3D314
	v_mul_f32_e32 v234, v20, v234                              // 0000000070CC: 0BD5D514
	v_mul_f32_e32 v235, v20, v235                              // 0000000070D0: 0BD7D714
	v_mul_f32_e32 v236, v25, v236                              // 0000000070D4: 0BD9D919
	v_mul_f32_e32 v237, v25, v237                              // 0000000070D8: 0BDBDB19
	v_mul_f32_e32 v238, v25, v238                              // 0000000070DC: 0BDDDD19
	v_mul_f32_e32 v239, v25, v239                              // 0000000070E0: 0BDFDF19
	v_mul_f32_dpp v236, v13, v236 row_newbcast:12 row_mask:0xf bank_mask:0xf// 0000000070E4: 0BD9D8FA FF015C0D
	v_mul_f32_dpp v237, v13, v237 row_newbcast:13 row_mask:0xf bank_mask:0xf// 0000000070EC: 0BDBDAFA FF015D0D
	v_mul_f32_dpp v238, v13, v238 row_newbcast:14 row_mask:0xf bank_mask:0xf// 0000000070F4: 0BDDDCFA FF015E0D
	v_mul_f32_dpp v239, v13, v239 row_newbcast:15 row_mask:0xf bank_mask:0xf// 0000000070FC: 0BDFDEFA FF015F0D
	v_mul_f32_e32 v236, v21, v236                              // 000000007104: 0BD9D915
	v_mul_f32_e32 v237, v21, v237                              // 000000007108: 0BDBDB15
	v_mul_f32_e32 v238, v21, v238                              // 00000000710C: 0BDDDD15
	v_mul_f32_e32 v239, v21, v239                              // 000000007110: 0BDFDF15
	v_cmp_u_f32_e64 s[48:49], v208, v208                       // 000000007114: D0480030 0003A1D0
	v_add3_u32 v44, v208, v47, 1                               // 00000000711C: D1FF002C 02065FD0
	v_cndmask_b32_e64 v50, v44, v46, s[48:49]                  // 000000007124: D1000032 00C25D2C
	v_cmp_u_f32_e64 s[48:49], v209, v209                       // 00000000712C: D0480030 0003A3D1
	v_add3_u32 v44, v209, v47, 1                               // 000000007134: D1FF002C 02065FD1
	v_cndmask_b32_e64 v51, v44, v46, s[48:49]                  // 00000000713C: D1000033 00C25D2C
	v_perm_b32 v208, v51, v50, s52                             // 000000007144: D1ED00D0 00D26533
	v_cmp_u_f32_e64 s[48:49], v210, v210                       // 00000000714C: D0480030 0003A5D2
	v_add3_u32 v44, v210, v47, 1                               // 000000007154: D1FF002C 02065FD2
	v_cndmask_b32_e64 v50, v44, v46, s[48:49]                  // 00000000715C: D1000032 00C25D2C
	v_cmp_u_f32_e64 s[48:49], v211, v211                       // 000000007164: D0480030 0003A7D3
	v_add3_u32 v44, v211, v47, 1                               // 00000000716C: D1FF002C 02065FD3
	v_cndmask_b32_e64 v51, v44, v46, s[48:49]                  // 000000007174: D1000033 00C25D2C
	v_perm_b32 v209, v51, v50, s52                             // 00000000717C: D1ED00D1 00D26533
	v_cmp_u_f32_e64 s[48:49], v212, v212                       // 000000007184: D0480030 0003A9D4
	v_add3_u32 v44, v212, v47, 1                               // 00000000718C: D1FF002C 02065FD4
	v_cndmask_b32_e64 v50, v44, v46, s[48:49]                  // 000000007194: D1000032 00C25D2C
	v_cmp_u_f32_e64 s[48:49], v213, v213                       // 00000000719C: D0480030 0003ABD5
	v_add3_u32 v44, v213, v47, 1                               // 0000000071A4: D1FF002C 02065FD5
	v_cndmask_b32_e64 v51, v44, v46, s[48:49]                  // 0000000071AC: D1000033 00C25D2C
	v_perm_b32 v210, v51, v50, s52                             // 0000000071B4: D1ED00D2 00D26533
	v_cmp_u_f32_e64 s[48:49], v214, v214                       // 0000000071BC: D0480030 0003ADD6
	v_add3_u32 v44, v214, v47, 1                               // 0000000071C4: D1FF002C 02065FD6
	v_cndmask_b32_e64 v50, v44, v46, s[48:49]                  // 0000000071CC: D1000032 00C25D2C
	v_cmp_u_f32_e64 s[48:49], v215, v215                       // 0000000071D4: D0480030 0003AFD7
	v_add3_u32 v44, v215, v47, 1                               // 0000000071DC: D1FF002C 02065FD7
	v_cndmask_b32_e64 v51, v44, v46, s[48:49]                  // 0000000071E4: D1000033 00C25D2C
	v_perm_b32 v211, v51, v50, s52                             // 0000000071EC: D1ED00D3 00D26533
	v_cmp_u_f32_e64 s[48:49], v216, v216                       // 0000000071F4: D0480030 0003B1D8
	v_add3_u32 v44, v216, v47, 1                               // 0000000071FC: D1FF002C 02065FD8
	v_cndmask_b32_e64 v50, v44, v46, s[48:49]                  // 000000007204: D1000032 00C25D2C
	v_cmp_u_f32_e64 s[48:49], v217, v217                       // 00000000720C: D0480030 0003B3D9
	v_add3_u32 v44, v217, v47, 1                               // 000000007214: D1FF002C 02065FD9
	v_cndmask_b32_e64 v51, v44, v46, s[48:49]                  // 00000000721C: D1000033 00C25D2C
	v_perm_b32 v212, v51, v50, s52                             // 000000007224: D1ED00D4 00D26533
	v_cmp_u_f32_e64 s[48:49], v218, v218                       // 00000000722C: D0480030 0003B5DA
	v_add3_u32 v44, v218, v47, 1                               // 000000007234: D1FF002C 02065FDA
	v_cndmask_b32_e64 v50, v44, v46, s[48:49]                  // 00000000723C: D1000032 00C25D2C
	v_cmp_u_f32_e64 s[48:49], v219, v219                       // 000000007244: D0480030 0003B7DB
	v_add3_u32 v44, v219, v47, 1                               // 00000000724C: D1FF002C 02065FDB
	v_cndmask_b32_e64 v51, v44, v46, s[48:49]                  // 000000007254: D1000033 00C25D2C
	v_perm_b32 v213, v51, v50, s52                             // 00000000725C: D1ED00D5 00D26533
	v_cmp_u_f32_e64 s[48:49], v220, v220                       // 000000007264: D0480030 0003B9DC
	v_add3_u32 v44, v220, v47, 1                               // 00000000726C: D1FF002C 02065FDC
	v_cndmask_b32_e64 v50, v44, v46, s[48:49]                  // 000000007274: D1000032 00C25D2C
	v_cmp_u_f32_e64 s[48:49], v221, v221                       // 00000000727C: D0480030 0003BBDD
	v_add3_u32 v44, v221, v47, 1                               // 000000007284: D1FF002C 02065FDD
	v_cndmask_b32_e64 v51, v44, v46, s[48:49]                  // 00000000728C: D1000033 00C25D2C
	v_perm_b32 v214, v51, v50, s52                             // 000000007294: D1ED00D6 00D26533
	v_cmp_u_f32_e64 s[48:49], v222, v222                       // 00000000729C: D0480030 0003BDDE
	v_add3_u32 v44, v222, v47, 1                               // 0000000072A4: D1FF002C 02065FDE
	v_cndmask_b32_e64 v50, v44, v46, s[48:49]                  // 0000000072AC: D1000032 00C25D2C
	v_cmp_u_f32_e64 s[48:49], v223, v223                       // 0000000072B4: D0480030 0003BFDF
	v_add3_u32 v44, v223, v47, 1                               // 0000000072BC: D1FF002C 02065FDF
	v_cndmask_b32_e64 v51, v44, v46, s[48:49]                  // 0000000072C4: D1000033 00C25D2C
	v_perm_b32 v215, v51, v50, s52                             // 0000000072CC: D1ED00D7 00D26533
	v_cmp_u_f32_e64 s[48:49], v224, v224                       // 0000000072D4: D0480030 0003C1E0
	v_add3_u32 v44, v224, v47, 1                               // 0000000072DC: D1FF002C 02065FE0
	v_cndmask_b32_e64 v50, v44, v46, s[48:49]                  // 0000000072E4: D1000032 00C25D2C
	v_cmp_u_f32_e64 s[48:49], v225, v225                       // 0000000072EC: D0480030 0003C3E1
	v_add3_u32 v44, v225, v47, 1                               // 0000000072F4: D1FF002C 02065FE1
	v_cndmask_b32_e64 v51, v44, v46, s[48:49]                  // 0000000072FC: D1000033 00C25D2C
	v_perm_b32 v216, v51, v50, s52                             // 000000007304: D1ED00D8 00D26533
	v_cmp_u_f32_e64 s[48:49], v226, v226                       // 00000000730C: D0480030 0003C5E2
	v_add3_u32 v44, v226, v47, 1                               // 000000007314: D1FF002C 02065FE2
	v_cndmask_b32_e64 v50, v44, v46, s[48:49]                  // 00000000731C: D1000032 00C25D2C
	v_cmp_u_f32_e64 s[48:49], v227, v227                       // 000000007324: D0480030 0003C7E3
	v_add3_u32 v44, v227, v47, 1                               // 00000000732C: D1FF002C 02065FE3
	v_cndmask_b32_e64 v51, v44, v46, s[48:49]                  // 000000007334: D1000033 00C25D2C
	v_perm_b32 v217, v51, v50, s52                             // 00000000733C: D1ED00D9 00D26533
	v_cmp_u_f32_e64 s[48:49], v228, v228                       // 000000007344: D0480030 0003C9E4
	v_add3_u32 v44, v228, v47, 1                               // 00000000734C: D1FF002C 02065FE4
	v_cndmask_b32_e64 v50, v44, v46, s[48:49]                  // 000000007354: D1000032 00C25D2C
	v_cmp_u_f32_e64 s[48:49], v229, v229                       // 00000000735C: D0480030 0003CBE5
	v_add3_u32 v44, v229, v47, 1                               // 000000007364: D1FF002C 02065FE5
	v_cndmask_b32_e64 v51, v44, v46, s[48:49]                  // 00000000736C: D1000033 00C25D2C
	v_perm_b32 v218, v51, v50, s52                             // 000000007374: D1ED00DA 00D26533
	v_cmp_u_f32_e64 s[48:49], v230, v230                       // 00000000737C: D0480030 0003CDE6
	v_add3_u32 v44, v230, v47, 1                               // 000000007384: D1FF002C 02065FE6
	v_cndmask_b32_e64 v50, v44, v46, s[48:49]                  // 00000000738C: D1000032 00C25D2C
	v_cmp_u_f32_e64 s[48:49], v231, v231                       // 000000007394: D0480030 0003CFE7
	v_add3_u32 v44, v231, v47, 1                               // 00000000739C: D1FF002C 02065FE7
	v_cndmask_b32_e64 v51, v44, v46, s[48:49]                  // 0000000073A4: D1000033 00C25D2C
	v_perm_b32 v219, v51, v50, s52                             // 0000000073AC: D1ED00DB 00D26533
	v_cmp_u_f32_e64 s[48:49], v232, v232                       // 0000000073B4: D0480030 0003D1E8
	v_add3_u32 v44, v232, v47, 1                               // 0000000073BC: D1FF002C 02065FE8
	v_cndmask_b32_e64 v50, v44, v46, s[48:49]                  // 0000000073C4: D1000032 00C25D2C
	v_cmp_u_f32_e64 s[48:49], v233, v233                       // 0000000073CC: D0480030 0003D3E9
	v_add3_u32 v44, v233, v47, 1                               // 0000000073D4: D1FF002C 02065FE9
	v_cndmask_b32_e64 v51, v44, v46, s[48:49]                  // 0000000073DC: D1000033 00C25D2C
	v_perm_b32 v220, v51, v50, s52                             // 0000000073E4: D1ED00DC 00D26533
	v_cmp_u_f32_e64 s[48:49], v234, v234                       // 0000000073EC: D0480030 0003D5EA
	v_add3_u32 v44, v234, v47, 1                               // 0000000073F4: D1FF002C 02065FEA
	v_cndmask_b32_e64 v50, v44, v46, s[48:49]                  // 0000000073FC: D1000032 00C25D2C
	v_cmp_u_f32_e64 s[48:49], v235, v235                       // 000000007404: D0480030 0003D7EB
	v_add3_u32 v44, v235, v47, 1                               // 00000000740C: D1FF002C 02065FEB
	v_cndmask_b32_e64 v51, v44, v46, s[48:49]                  // 000000007414: D1000033 00C25D2C
	v_perm_b32 v221, v51, v50, s52                             // 00000000741C: D1ED00DD 00D26533
	v_cmp_u_f32_e64 s[48:49], v236, v236                       // 000000007424: D0480030 0003D9EC
	v_add3_u32 v44, v236, v47, 1                               // 00000000742C: D1FF002C 02065FEC
	v_cndmask_b32_e64 v50, v44, v46, s[48:49]                  // 000000007434: D1000032 00C25D2C
	v_cmp_u_f32_e64 s[48:49], v237, v237                       // 00000000743C: D0480030 0003DBED
	v_add3_u32 v44, v237, v47, 1                               // 000000007444: D1FF002C 02065FED
	v_cndmask_b32_e64 v51, v44, v46, s[48:49]                  // 00000000744C: D1000033 00C25D2C
	v_perm_b32 v222, v51, v50, s52                             // 000000007454: D1ED00DE 00D26533
	v_cmp_u_f32_e64 s[48:49], v238, v238                       // 00000000745C: D0480030 0003DDEE
	v_add3_u32 v44, v238, v47, 1                               // 000000007464: D1FF002C 02065FEE
	v_cndmask_b32_e64 v50, v44, v46, s[48:49]                  // 00000000746C: D1000032 00C25D2C
	v_cmp_u_f32_e64 s[48:49], v239, v239                       // 000000007474: D0480030 0003DFEF
	v_add3_u32 v44, v239, v47, 1                               // 00000000747C: D1FF002C 02065FEF
	v_cndmask_b32_e64 v51, v44, v46, s[48:49]                  // 000000007484: D1000033 00C25D2C
	v_perm_b32 v223, v51, v50, s52                             // 00000000748C: D1ED00DF 00D26533
	s_cmp_ge_u32 s80, 0x200                                    // 000000007494: BF09FF50 00000200
	s_cselect_b32 s59, 0x200, s59                              // 00000000749C: 853B3BFF 00000200
	s_setvskip s20, 0                                          // 0000000074A4: BF108014
	global_atomic_pk_add_bf16 v80, v64, s[8:9]                 // 0000000074A8: DD488000 00084050
	s_setvskip 0, 0                                            // 0000000074B0: BF108080
	s_setvskip s20, 0                                          // 0000000074B4: BF108014
	global_atomic_pk_add_bf16 v80, v65, s[8:9] offset:256      // 0000000074B8: DD488100 00084150
	s_setvskip 0, 0                                            // 0000000074C0: BF108080
	s_setvskip s20, 1                                          // 0000000074C4: BF108114
	global_atomic_pk_add_bf16 v82, v66, s[8:9]                 // 0000000074C8: DD488000 00084252
	s_setvskip 0, 0                                            // 0000000074D0: BF108080
	s_setvskip s20, 1                                          // 0000000074D4: BF108114
	global_atomic_pk_add_bf16 v82, v67, s[8:9] offset:256      // 0000000074D8: DD488100 00084352
	s_setvskip 0, 0                                            // 0000000074E0: BF108080
	s_setvskip s20, 2                                          // 0000000074E4: BF108214
	global_atomic_pk_add_bf16 v84, v68, s[8:9]                 // 0000000074E8: DD488000 00084454
	s_setvskip 0, 0                                            // 0000000074F0: BF108080
	s_setvskip s20, 2                                          // 0000000074F4: BF108214
	global_atomic_pk_add_bf16 v84, v69, s[8:9] offset:256      // 0000000074F8: DD488100 00084554
	s_setvskip 0, 0                                            // 000000007500: BF108080
	s_setvskip s20, 3                                          // 000000007504: BF108314
	global_atomic_pk_add_bf16 v86, v70, s[8:9]                 // 000000007508: DD488000 00084656
	s_setvskip 0, 0                                            // 000000007510: BF108080
	s_setvskip s20, 3                                          // 000000007514: BF108314
	global_atomic_pk_add_bf16 v86, v71, s[8:9] offset:256      // 000000007518: DD488100 00084756
	s_setvskip 0, 0                                            // 000000007520: BF108080
	s_setvskip s20, 4                                          // 000000007524: BF108414
	global_atomic_pk_add_bf16 v88, v72, s[8:9]                 // 000000007528: DD488000 00084858
	s_setvskip 0, 0                                            // 000000007530: BF108080
	s_setvskip s20, 4                                          // 000000007534: BF108414
	global_atomic_pk_add_bf16 v88, v73, s[8:9] offset:256      // 000000007538: DD488100 00084958
	s_setvskip 0, 0                                            // 000000007540: BF108080
	s_setvskip s20, 5                                          // 000000007544: BF108514
	global_atomic_pk_add_bf16 v90, v74, s[8:9]                 // 000000007548: DD488000 00084A5A
	s_setvskip 0, 0                                            // 000000007550: BF108080
	s_setvskip s20, 5                                          // 000000007554: BF108514
	global_atomic_pk_add_bf16 v90, v75, s[8:9] offset:256      // 000000007558: DD488100 00084B5A
	s_setvskip 0, 0                                            // 000000007560: BF108080
	s_setvskip s20, 6                                          // 000000007564: BF108614
	global_atomic_pk_add_bf16 v92, v76, s[8:9]                 // 000000007568: DD488000 00084C5C
	s_setvskip 0, 0                                            // 000000007570: BF108080
	s_setvskip s20, 6                                          // 000000007574: BF108614
	global_atomic_pk_add_bf16 v92, v77, s[8:9] offset:256      // 000000007578: DD488100 00084D5C
	s_setvskip 0, 0                                            // 000000007580: BF108080
	s_setvskip s20, 7                                          // 000000007584: BF108714
	global_atomic_pk_add_bf16 v94, v78, s[8:9]                 // 000000007588: DD488000 00084E5E
	s_setvskip 0, 0                                            // 000000007590: BF108080
	s_setvskip s20, 7                                          // 000000007594: BF108714
	global_atomic_pk_add_bf16 v94, v79, s[8:9] offset:256      // 000000007598: DD488100 00084F5E
	s_setvskip 0, 0                                            // 0000000075A0: BF108080
	s_add_u32 s8, s59, s8                                      // 0000000075A4: 8008083B
	s_addc_u32 s9, 0, s9                                       // 0000000075A8: 82090980
	s_addk_i32 s80, 0x100                                      // 0000000075AC: B7500100
	s_cmp_lt_i32 s80, s81                                      // 0000000075B0: BF045150
	s_cbranch_scc0 label_11EF                                  // 0000000075B4: BF840001
	s_branch label_0C22                                        // 0000000075B8: BF82FA33

00000000000075bc <label_11EF>:
	s_nop 0                                                    // 0000000075BC: BF800000
	s_nop 0                                                    // 0000000075C0: BF800000
	s_branch label_2170                                        // 0000000075C4: BF820F7E

00000000000075c8 <label_11F2>:
	s_waitcnt vmcnt(16) lgkmcnt(0)                             // 0000000075C8: BF8C4070
	s_barrier                                                  // 0000000075CC: BF8A0000
	v_mfma_f32_16x16x32_fp8_fp8 v[128:131], a[0:1], v[176:177], v[128:131]// 0000000075D0: D3F30080 0E036100
	buffer_load_dwordx4 a[96:99], v34, s[92:95], 0 offen       // 0000000075D8: E05C1000 80976022
	v_mfma_f32_16x16x32_fp8_fp8 v[128:131], a[2:3], v[178:179], v[128:131]// 0000000075E0: D3F30080 0E036502
	v_mfma_f32_16x16x32_fp8_fp8 v[128:131], a[4:5], v[180:181], v[128:131]// 0000000075E8: D3F30080 0E036904
	buffer_load_dword v26, s[20:23], 0 offen lds               // 0000000075F0: E0511000 8005001A
	s_add_u32 m0, 0x100, s51                                   // 0000000075F8: 807C33FF 00000100
	v_mfma_f32_16x16x32_fp8_fp8 v[128:131], a[6:7], v[182:183], v[128:131]// 000000007600: D3F30080 0E036D06
	v_mfma_f32_16x16x32_fp8_fp8 v[128:131], a[8:9], v[184:185], v[128:131]// 000000007608: D3F30080 0E037108
	buffer_load_dwordx4 a[100:103], v34, s[92:95], 0 offen offset:1024// 000000007610: E05C1400 80976422
	v_mfma_f32_16x16x32_fp8_fp8 v[128:131], a[10:11], v[186:187], v[128:131]// 000000007618: D3F30080 0E03750A
	v_mfma_f32_16x16x32_fp8_fp8 v[128:131], a[12:13], v[188:189], v[128:131]// 000000007620: D3F30080 0E03790C
	buffer_load_dword v27, s[20:23], 0 offen lds               // 000000007628: E0511000 8005001B
	s_add_u32 m0, 0x200, s51                                   // 000000007630: 807C33FF 00000200
	v_mfma_f32_16x16x32_fp8_fp8 v[128:131], a[14:15], v[190:191], v[128:131]// 000000007638: D3F30080 0E037D0E
	v_mfma_f32_16x16x32_fp8_fp8 v[132:135], a[0:1], v[192:193], v[132:135]// 000000007640: D3F30084 0E138100
	buffer_load_dwordx4 a[104:107], v34, s[92:95], 0 offen offset:2048// 000000007648: E05C1800 80976822
	v_mfma_f32_16x16x32_fp8_fp8 v[132:135], a[2:3], v[194:195], v[132:135]// 000000007650: D3F30084 0E138502
	v_mfma_f32_16x16x32_fp8_fp8 v[132:135], a[4:5], v[196:197], v[132:135]// 000000007658: D3F30084 0E138904
	buffer_load_dword v28, s[20:23], 0 offen lds               // 000000007660: E0511000 8005001C
	s_add_u32 m0, 0x300, s51                                   // 000000007668: 807C33FF 00000300
	v_mfma_f32_16x16x32_fp8_fp8 v[132:135], a[6:7], v[198:199], v[132:135]// 000000007670: D3F30084 0E138D06
	v_mfma_f32_16x16x32_fp8_fp8 v[132:135], a[8:9], v[200:201], v[132:135]// 000000007678: D3F30084 0E139108
	buffer_load_dwordx4 a[108:111], v34, s[92:95], 0 offen offset:3072// 000000007680: E05C1C00 80976C22
	v_mfma_f32_16x16x32_fp8_fp8 v[132:135], a[10:11], v[202:203], v[132:135]// 000000007688: D3F30084 0E13950A
	v_mfma_f32_16x16x32_fp8_fp8 v[132:135], a[12:13], v[204:205], v[132:135]// 000000007690: D3F30084 0E13990C
	buffer_load_dword v29, s[20:23], 0 offen lds               // 000000007698: E0511000 8005001D
	s_add_u32 m0, 0x400, s51                                   // 0000000076A0: 807C33FF 00000400
	v_mfma_f32_16x16x32_fp8_fp8 v[132:135], a[14:15], v[206:207], v[132:135]// 0000000076A8: D3F30084 0E139D0E
	v_mfma_f32_16x16x32_fp8_fp8 v[136:139], a[16:17], v[176:177], v[136:139]// 0000000076B0: D3F30088 0E236110
	buffer_load_dwordx4 a[112:115], v35, s[92:95], 0 offen     // 0000000076B8: E05C1000 80977023
	v_mfma_f32_16x16x32_fp8_fp8 v[136:139], a[18:19], v[178:179], v[136:139]// 0000000076C0: D3F30088 0E236512
	v_mfma_f32_16x16x32_fp8_fp8 v[136:139], a[20:21], v[180:181], v[136:139]// 0000000076C8: D3F30088 0E236914
	buffer_load_dword v30, s[20:23], 0 offen lds               // 0000000076D0: E0511000 8005001E
	s_add_u32 m0, 0x500, s51                                   // 0000000076D8: 807C33FF 00000500
	v_mfma_f32_16x16x32_fp8_fp8 v[136:139], a[22:23], v[182:183], v[136:139]// 0000000076E0: D3F30088 0E236D16
	v_mfma_f32_16x16x32_fp8_fp8 v[136:139], a[24:25], v[184:185], v[136:139]// 0000000076E8: D3F30088 0E237118
	buffer_load_dwordx4 a[116:119], v35, s[92:95], 0 offen offset:1024// 0000000076F0: E05C1400 80977423
	v_mfma_f32_16x16x32_fp8_fp8 v[136:139], a[26:27], v[186:187], v[136:139]// 0000000076F8: D3F30088 0E23751A
	v_mfma_f32_16x16x32_fp8_fp8 v[136:139], a[28:29], v[188:189], v[136:139]// 000000007700: D3F30088 0E23791C
	buffer_load_dword v31, s[20:23], 0 offen lds               // 000000007708: E0511000 8005001F
	s_add_u32 m0, 0x600, s51                                   // 000000007710: 807C33FF 00000600
	v_mfma_f32_16x16x32_fp8_fp8 v[136:139], a[30:31], v[190:191], v[136:139]// 000000007718: D3F30088 0E237D1E
	v_mfma_f32_16x16x32_fp8_fp8 v[140:143], a[16:17], v[192:193], v[140:143]// 000000007720: D3F3008C 0E338110
	buffer_load_dwordx4 a[120:123], v35, s[92:95], 0 offen offset:2048// 000000007728: E05C1800 80977823
	v_mfma_f32_16x16x32_fp8_fp8 v[140:143], a[18:19], v[194:195], v[140:143]// 000000007730: D3F3008C 0E338512
	v_mfma_f32_16x16x32_fp8_fp8 v[140:143], a[20:21], v[196:197], v[140:143]// 000000007738: D3F3008C 0E338914
	buffer_load_dword v32, s[20:23], 0 offen lds               // 000000007740: E0511000 80050020
	s_add_u32 m0, 0x700, s51                                   // 000000007748: 807C33FF 00000700
	v_mfma_f32_16x16x32_fp8_fp8 v[140:143], a[22:23], v[198:199], v[140:143]// 000000007750: D3F3008C 0E338D16
	v_mfma_f32_16x16x32_fp8_fp8 v[140:143], a[24:25], v[200:201], v[140:143]// 000000007758: D3F3008C 0E339118
	buffer_load_dwordx4 a[124:127], v35, s[92:95], 0 offen offset:3072// 000000007760: E05C1C00 80977C23
	v_mfma_f32_16x16x32_fp8_fp8 v[140:143], a[26:27], v[202:203], v[140:143]// 000000007768: D3F3008C 0E33951A
	v_mfma_f32_16x16x32_fp8_fp8 v[140:143], a[28:29], v[204:205], v[140:143]// 000000007770: D3F3008C 0E33991C
	buffer_load_dword v33, s[20:23], 0 offen lds               // 000000007778: E0511000 80050021
	s_add_u32 m0, 0, s50                                       // 000000007780: 807C3280
	v_mfma_f32_16x16x32_fp8_fp8 v[140:143], a[30:31], v[206:207], v[140:143]// 000000007784: D3F3008C 0E339D1E
	s_waitcnt vmcnt(28)                                        // 00000000778C: BF8C4F7C
	v_mfma_f32_16x16x32_fp8_fp8 v[144:147], a[32:33], v[176:177], v[144:147]// 000000007790: D3F30090 0E436120
	buffer_load_dwordx4 a[128:131], v36, s[92:95], 0 offen     // 000000007798: E05C1000 80978024
	v_mfma_f32_16x16x32_fp8_fp8 v[144:147], a[34:35], v[178:179], v[144:147]// 0000000077A0: D3F30090 0E436522
	v_mfma_f32_16x16x32_fp8_fp8 v[144:147], a[36:37], v[180:181], v[144:147]// 0000000077A8: D3F30090 0E436924
	v_mfma_f32_16x16x32_fp8_fp8 v[144:147], a[38:39], v[182:183], v[144:147]// 0000000077B0: D3F30090 0E436D26
	v_mfma_f32_16x16x32_fp8_fp8 v[144:147], a[40:41], v[184:185], v[144:147]// 0000000077B8: D3F30090 0E437128
	buffer_load_dwordx4 a[132:135], v36, s[92:95], 0 offen offset:1024// 0000000077C0: E05C1400 80978424
	v_mfma_f32_16x16x32_fp8_fp8 v[144:147], a[42:43], v[186:187], v[144:147]// 0000000077C8: D3F30090 0E43752A
	v_mfma_f32_16x16x32_fp8_fp8 v[144:147], a[44:45], v[188:189], v[144:147]// 0000000077D0: D3F30090 0E43792C
	v_mfma_f32_16x16x32_fp8_fp8 v[144:147], a[46:47], v[190:191], v[144:147]// 0000000077D8: D3F30090 0E437D2E
	v_mfma_f32_16x16x32_fp8_fp8 v[148:151], a[32:33], v[192:193], v[148:151]// 0000000077E0: D3F30094 0E538120
	buffer_load_dwordx4 a[136:139], v36, s[92:95], 0 offen offset:2048// 0000000077E8: E05C1800 80978824
	v_mfma_f32_16x16x32_fp8_fp8 v[148:151], a[34:35], v[194:195], v[148:151]// 0000000077F0: D3F30094 0E538522
	v_mfma_f32_16x16x32_fp8_fp8 v[148:151], a[36:37], v[196:197], v[148:151]// 0000000077F8: D3F30094 0E538924
	v_mfma_f32_16x16x32_fp8_fp8 v[148:151], a[38:39], v[198:199], v[148:151]// 000000007800: D3F30094 0E538D26
	v_mfma_f32_16x16x32_fp8_fp8 v[148:151], a[40:41], v[200:201], v[148:151]// 000000007808: D3F30094 0E539128
	buffer_load_dwordx4 a[140:143], v36, s[92:95], 0 offen offset:3072// 000000007810: E05C1C00 80978C24
	v_mfma_f32_16x16x32_fp8_fp8 v[148:151], a[42:43], v[202:203], v[148:151]// 000000007818: D3F30094 0E53952A
	v_mfma_f32_16x16x32_fp8_fp8 v[148:151], a[44:45], v[204:205], v[148:151]// 000000007820: D3F30094 0E53992C
	v_mfma_f32_16x16x32_fp8_fp8 v[148:151], a[46:47], v[206:207], v[148:151]// 000000007828: D3F30094 0E539D2E
	s_waitcnt vmcnt(28)                                        // 000000007830: BF8C4F7C
	v_mfma_f32_16x16x32_fp8_fp8 v[152:155], a[48:49], v[176:177], v[152:155]// 000000007834: D3F30098 0E636130
	buffer_load_dwordx4 a[144:147], v37, s[92:95], 0 offen     // 00000000783C: E05C1000 80979025
	v_mfma_f32_16x16x32_fp8_fp8 v[152:155], a[50:51], v[178:179], v[152:155]// 000000007844: D3F30098 0E636532
	v_mfma_f32_16x16x32_fp8_fp8 v[152:155], a[52:53], v[180:181], v[152:155]// 00000000784C: D3F30098 0E636934
	v_mfma_f32_16x16x32_fp8_fp8 v[152:155], a[54:55], v[182:183], v[152:155]// 000000007854: D3F30098 0E636D36
	v_mfma_f32_16x16x32_fp8_fp8 v[152:155], a[56:57], v[184:185], v[152:155]// 00000000785C: D3F30098 0E637138
	buffer_load_dwordx4 a[148:151], v37, s[92:95], 0 offen offset:1024// 000000007864: E05C1400 80979425
	v_mfma_f32_16x16x32_fp8_fp8 v[152:155], a[58:59], v[186:187], v[152:155]// 00000000786C: D3F30098 0E63753A
	v_mfma_f32_16x16x32_fp8_fp8 v[152:155], a[60:61], v[188:189], v[152:155]// 000000007874: D3F30098 0E63793C
	v_mfma_f32_16x16x32_fp8_fp8 v[152:155], a[62:63], v[190:191], v[152:155]// 00000000787C: D3F30098 0E637D3E
	v_mfma_f32_16x16x32_fp8_fp8 v[156:159], a[48:49], v[192:193], v[156:159]// 000000007884: D3F3009C 0E738130
	buffer_load_dwordx4 a[152:155], v37, s[92:95], 0 offen offset:2048// 00000000788C: E05C1800 80979825
	v_mfma_f32_16x16x32_fp8_fp8 v[156:159], a[50:51], v[194:195], v[156:159]// 000000007894: D3F3009C 0E738532
	v_mfma_f32_16x16x32_fp8_fp8 v[156:159], a[52:53], v[196:197], v[156:159]// 00000000789C: D3F3009C 0E738934
	v_mfma_f32_16x16x32_fp8_fp8 v[156:159], a[54:55], v[198:199], v[156:159]// 0000000078A4: D3F3009C 0E738D36
	v_mfma_f32_16x16x32_fp8_fp8 v[156:159], a[56:57], v[200:201], v[156:159]// 0000000078AC: D3F3009C 0E739138
	buffer_load_dwordx4 a[156:159], v37, s[92:95], 0 offen offset:3072// 0000000078B4: E05C1C00 80979C25
	v_mfma_f32_16x16x32_fp8_fp8 v[156:159], a[58:59], v[202:203], v[156:159]// 0000000078BC: D3F3009C 0E73953A
	v_mfma_f32_16x16x32_fp8_fp8 v[156:159], a[60:61], v[204:205], v[156:159]// 0000000078C4: D3F3009C 0E73993C
	v_mfma_f32_16x16x32_fp8_fp8 v[156:159], a[62:63], v[206:207], v[156:159]// 0000000078CC: D3F3009C 0E739D3E
	s_waitcnt vmcnt(28)                                        // 0000000078D4: BF8C4F7C
	v_mfma_f32_16x16x32_fp8_fp8 v[160:163], a[64:65], v[176:177], v[160:163]// 0000000078D8: D3F300A0 0E836140
	buffer_load_dwordx4 a[160:163], v38, s[92:95], 0 offen     // 0000000078E0: E05C1000 8097A026
	v_mfma_f32_16x16x32_fp8_fp8 v[160:163], a[66:67], v[178:179], v[160:163]// 0000000078E8: D3F300A0 0E836542
	v_mfma_f32_16x16x32_fp8_fp8 v[160:163], a[68:69], v[180:181], v[160:163]// 0000000078F0: D3F300A0 0E836944
	v_mfma_f32_16x16x32_fp8_fp8 v[160:163], a[70:71], v[182:183], v[160:163]// 0000000078F8: D3F300A0 0E836D46
	v_mfma_f32_16x16x32_fp8_fp8 v[160:163], a[72:73], v[184:185], v[160:163]// 000000007900: D3F300A0 0E837148
	buffer_load_dwordx4 a[164:167], v38, s[92:95], 0 offen offset:1024// 000000007908: E05C1400 8097A426
	v_mfma_f32_16x16x32_fp8_fp8 v[160:163], a[74:75], v[186:187], v[160:163]// 000000007910: D3F300A0 0E83754A
	v_mfma_f32_16x16x32_fp8_fp8 v[160:163], a[76:77], v[188:189], v[160:163]// 000000007918: D3F300A0 0E83794C
	v_mfma_f32_16x16x32_fp8_fp8 v[160:163], a[78:79], v[190:191], v[160:163]// 000000007920: D3F300A0 0E837D4E
	v_mfma_f32_16x16x32_fp8_fp8 v[164:167], a[64:65], v[192:193], v[164:167]// 000000007928: D3F300A4 0E938140
	buffer_load_dwordx4 a[168:171], v38, s[92:95], 0 offen offset:2048// 000000007930: E05C1800 8097A826
	v_mfma_f32_16x16x32_fp8_fp8 v[164:167], a[66:67], v[194:195], v[164:167]// 000000007938: D3F300A4 0E938542
	v_mfma_f32_16x16x32_fp8_fp8 v[164:167], a[68:69], v[196:197], v[164:167]// 000000007940: D3F300A4 0E938944
	v_mfma_f32_16x16x32_fp8_fp8 v[164:167], a[70:71], v[198:199], v[164:167]// 000000007948: D3F300A4 0E938D46
	v_mfma_f32_16x16x32_fp8_fp8 v[164:167], a[72:73], v[200:201], v[164:167]// 000000007950: D3F300A4 0E939148
	buffer_load_dwordx4 a[172:175], v38, s[92:95], 0 offen offset:3072// 000000007958: E05C1C00 8097AC26
	v_mfma_f32_16x16x32_fp8_fp8 v[164:167], a[74:75], v[202:203], v[164:167]// 000000007960: D3F300A4 0E93954A
	v_mfma_f32_16x16x32_fp8_fp8 v[164:167], a[76:77], v[204:205], v[164:167]// 000000007968: D3F300A4 0E93994C
	v_mfma_f32_16x16x32_fp8_fp8 v[164:167], a[78:79], v[206:207], v[164:167]// 000000007970: D3F300A4 0E939D4E
	s_waitcnt vmcnt(28)                                        // 000000007978: BF8C4F7C
	v_mfma_f32_16x16x32_fp8_fp8 v[168:171], a[80:81], v[176:177], v[168:171]// 00000000797C: D3F300A8 0EA36150
	buffer_load_dwordx4 a[176:179], v39, s[92:95], 0 offen     // 000000007984: E05C1000 8097B027
	v_mfma_f32_16x16x32_fp8_fp8 v[168:171], a[82:83], v[178:179], v[168:171]// 00000000798C: D3F300A8 0EA36552
	v_mfma_f32_16x16x32_fp8_fp8 v[168:171], a[84:85], v[180:181], v[168:171]// 000000007994: D3F300A8 0EA36954
	v_mfma_f32_16x16x32_fp8_fp8 v[168:171], a[86:87], v[182:183], v[168:171]// 00000000799C: D3F300A8 0EA36D56
	v_mfma_f32_16x16x32_fp8_fp8 v[168:171], a[88:89], v[184:185], v[168:171]// 0000000079A4: D3F300A8 0EA37158
	buffer_load_dwordx4 a[180:183], v39, s[92:95], 0 offen offset:1024// 0000000079AC: E05C1400 8097B427
	v_mfma_f32_16x16x32_fp8_fp8 v[168:171], a[90:91], v[186:187], v[168:171]// 0000000079B4: D3F300A8 0EA3755A
	v_mfma_f32_16x16x32_fp8_fp8 v[168:171], a[92:93], v[188:189], v[168:171]// 0000000079BC: D3F300A8 0EA3795C
	v_mfma_f32_16x16x32_fp8_fp8 v[168:171], a[94:95], v[190:191], v[168:171]// 0000000079C4: D3F300A8 0EA37D5E
	v_mfma_f32_16x16x32_fp8_fp8 v[172:175], a[80:81], v[192:193], v[172:175]// 0000000079CC: D3F300AC 0EB38150
	buffer_load_dwordx4 a[184:187], v39, s[92:95], 0 offen offset:2048// 0000000079D4: E05C1800 8097B827
	v_mfma_f32_16x16x32_fp8_fp8 v[172:175], a[82:83], v[194:195], v[172:175]// 0000000079DC: D3F300AC 0EB38552
	v_mfma_f32_16x16x32_fp8_fp8 v[172:175], a[84:85], v[196:197], v[172:175]// 0000000079E4: D3F300AC 0EB38954
	v_mfma_f32_16x16x32_fp8_fp8 v[172:175], a[86:87], v[198:199], v[172:175]// 0000000079EC: D3F300AC 0EB38D56
	v_mfma_f32_16x16x32_fp8_fp8 v[172:175], a[88:89], v[200:201], v[172:175]// 0000000079F4: D3F300AC 0EB39158
	buffer_load_dwordx4 a[188:191], v39, s[92:95], 0 offen offset:3072// 0000000079FC: E05C1C00 8097BC27
	v_mfma_f32_16x16x32_fp8_fp8 v[172:175], a[90:91], v[202:203], v[172:175]// 000000007A04: D3F300AC 0EB3955A
	v_mfma_f32_16x16x32_fp8_fp8 v[172:175], a[92:93], v[204:205], v[172:175]// 000000007A0C: D3F300AC 0EB3995C
	v_mfma_f32_16x16x32_fp8_fp8 v[172:175], a[94:95], v[206:207], v[172:175]// 000000007A14: D3F300AC 0EB39D5E
	s_waitcnt vmcnt(16)                                        // 000000007A1C: BF8C4F70
	s_barrier                                                  // 000000007A20: BF8A0000
	v_mfma_f32_16x16x32_fp8_fp8 v[64:67], a[96:97], v[176:177], v[64:67]// 000000007A24: D3F30040 0D036160
	buffer_load_dwordx4 a[0:3], v34, s[24:27], 0 offen         // 000000007A2C: E05C1000 80860022
	v_mfma_f32_16x16x32_fp8_fp8 v[64:67], a[98:99], v[178:179], v[64:67]// 000000007A34: D3F30040 0D036562
	v_mfma_f32_16x16x32_fp8_fp8 v[64:67], a[100:101], v[180:181], v[64:67]// 000000007A3C: D3F30040 0D036964
	v_mfma_f32_16x16x32_fp8_fp8 v[64:67], a[102:103], v[182:183], v[64:67]// 000000007A44: D3F30040 0D036D66
	v_mfma_f32_16x16x32_fp8_fp8 v[64:67], a[104:105], v[184:185], v[64:67]// 000000007A4C: D3F30040 0D037168
	buffer_load_dwordx4 a[4:7], v34, s[24:27], 0 offen offset:1024// 000000007A54: E05C1400 80860422
	v_mfma_f32_16x16x32_fp8_fp8 v[64:67], a[106:107], v[186:187], v[64:67]// 000000007A5C: D3F30040 0D03756A
	v_mfma_f32_16x16x32_fp8_fp8 v[64:67], a[108:109], v[188:189], v[64:67]// 000000007A64: D3F30040 0D03796C
	v_mfma_f32_16x16x32_fp8_fp8 v[64:67], a[110:111], v[190:191], v[64:67]// 000000007A6C: D3F30040 0D037D6E
	v_mfma_f32_16x16x32_fp8_fp8 v[68:71], a[96:97], v[192:193], v[68:71]// 000000007A74: D3F30044 0D138160
	buffer_load_dwordx4 a[8:11], v34, s[24:27], 0 offen offset:2048// 000000007A7C: E05C1800 80860822
	v_mfma_f32_16x16x32_fp8_fp8 v[68:71], a[98:99], v[194:195], v[68:71]// 000000007A84: D3F30044 0D138562
	v_mfma_f32_16x16x32_fp8_fp8 v[68:71], a[100:101], v[196:197], v[68:71]// 000000007A8C: D3F30044 0D138964
	v_mfma_f32_16x16x32_fp8_fp8 v[68:71], a[102:103], v[198:199], v[68:71]// 000000007A94: D3F30044 0D138D66
	v_mfma_f32_16x16x32_fp8_fp8 v[68:71], a[104:105], v[200:201], v[68:71]// 000000007A9C: D3F30044 0D139168
	buffer_load_dwordx4 a[12:15], v34, s[24:27], 0 offen offset:3072// 000000007AA4: E05C1C00 80860C22
	v_mfma_f32_16x16x32_fp8_fp8 v[68:71], a[106:107], v[202:203], v[68:71]// 000000007AAC: D3F30044 0D13956A
	v_mfma_f32_16x16x32_fp8_fp8 v[68:71], a[108:109], v[204:205], v[68:71]// 000000007AB4: D3F30044 0D13996C
	v_mfma_f32_16x16x32_fp8_fp8 v[68:71], a[110:111], v[206:207], v[68:71]// 000000007ABC: D3F30044 0D139D6E
	v_mfma_f32_16x16x32_fp8_fp8 v[72:75], a[112:113], v[176:177], v[72:75]// 000000007AC4: D3F30048 0D236170
	buffer_load_dwordx4 a[16:19], v35, s[24:27], 0 offen       // 000000007ACC: E05C1000 80861023
	v_mfma_f32_16x16x32_fp8_fp8 v[72:75], a[114:115], v[178:179], v[72:75]// 000000007AD4: D3F30048 0D236572
	v_mfma_f32_16x16x32_fp8_fp8 v[72:75], a[116:117], v[180:181], v[72:75]// 000000007ADC: D3F30048 0D236974
	v_mfma_f32_16x16x32_fp8_fp8 v[72:75], a[118:119], v[182:183], v[72:75]// 000000007AE4: D3F30048 0D236D76
	v_mfma_f32_16x16x32_fp8_fp8 v[72:75], a[120:121], v[184:185], v[72:75]// 000000007AEC: D3F30048 0D237178
	buffer_load_dwordx4 a[20:23], v35, s[24:27], 0 offen offset:1024// 000000007AF4: E05C1400 80861423
	v_mfma_f32_16x16x32_fp8_fp8 v[72:75], a[122:123], v[186:187], v[72:75]// 000000007AFC: D3F30048 0D23757A
	v_mfma_f32_16x16x32_fp8_fp8 v[72:75], a[124:125], v[188:189], v[72:75]// 000000007B04: D3F30048 0D23797C
	v_mfma_f32_16x16x32_fp8_fp8 v[72:75], a[126:127], v[190:191], v[72:75]// 000000007B0C: D3F30048 0D237D7E
	v_mfma_f32_16x16x32_fp8_fp8 v[76:79], a[112:113], v[192:193], v[76:79]// 000000007B14: D3F3004C 0D338170
	buffer_load_dwordx4 a[24:27], v35, s[24:27], 0 offen offset:2048// 000000007B1C: E05C1800 80861823
	v_mfma_f32_16x16x32_fp8_fp8 v[76:79], a[114:115], v[194:195], v[76:79]// 000000007B24: D3F3004C 0D338572
	v_mfma_f32_16x16x32_fp8_fp8 v[76:79], a[116:117], v[196:197], v[76:79]// 000000007B2C: D3F3004C 0D338974
	v_mfma_f32_16x16x32_fp8_fp8 v[76:79], a[118:119], v[198:199], v[76:79]// 000000007B34: D3F3004C 0D338D76
	v_mfma_f32_16x16x32_fp8_fp8 v[76:79], a[120:121], v[200:201], v[76:79]// 000000007B3C: D3F3004C 0D339178
	buffer_load_dwordx4 a[28:31], v35, s[24:27], 0 offen offset:3072// 000000007B44: E05C1C00 80861C23
	v_mfma_f32_16x16x32_fp8_fp8 v[76:79], a[122:123], v[202:203], v[76:79]// 000000007B4C: D3F3004C 0D33957A
	v_mfma_f32_16x16x32_fp8_fp8 v[76:79], a[124:125], v[204:205], v[76:79]// 000000007B54: D3F3004C 0D33997C
	v_mfma_f32_16x16x32_fp8_fp8 v[76:79], a[126:127], v[206:207], v[76:79]// 000000007B5C: D3F3004C 0D339D7E
	s_waitcnt vmcnt(20)                                        // 000000007B64: BF8C4F74
	v_mfma_f32_16x16x32_fp8_fp8 v[80:83], a[128:129], v[176:177], v[80:83]// 000000007B68: D3F30050 0D436180
	buffer_load_dwordx4 a[32:35], v36, s[24:27], 0 offen       // 000000007B70: E05C1000 80862024
	v_mfma_f32_16x16x32_fp8_fp8 v[80:83], a[130:131], v[178:179], v[80:83]// 000000007B78: D3F30050 0D436582
	v_mfma_f32_16x16x32_fp8_fp8 v[80:83], a[132:133], v[180:181], v[80:83]// 000000007B80: D3F30050 0D436984
	ds_read_b128 v[208:211], v2 offset:8320                    // 000000007B88: D9FE2080 D0000002
	v_mfma_f32_16x16x32_fp8_fp8 v[80:83], a[134:135], v[182:183], v[80:83]// 000000007B90: D3F30050 0D436D86
	v_mfma_f32_16x16x32_fp8_fp8 v[80:83], a[136:137], v[184:185], v[80:83]// 000000007B98: D3F30050 0D437188
	buffer_load_dwordx4 a[36:39], v36, s[24:27], 0 offen offset:1024// 000000007BA0: E05C1400 80862424
	v_mfma_f32_16x16x32_fp8_fp8 v[80:83], a[138:139], v[186:187], v[80:83]// 000000007BA8: D3F30050 0D43758A
	v_mfma_f32_16x16x32_fp8_fp8 v[80:83], a[140:141], v[188:189], v[80:83]// 000000007BB0: D3F30050 0D43798C
	ds_read_b128 v[212:215], v2 offset:8384                    // 000000007BB8: D9FE20C0 D4000002
	v_mfma_f32_16x16x32_fp8_fp8 v[80:83], a[142:143], v[190:191], v[80:83]// 000000007BC0: D3F30050 0D437D8E
	v_mfma_f32_16x16x32_fp8_fp8 v[84:87], a[128:129], v[192:193], v[84:87]// 000000007BC8: D3F30054 0D538180
	buffer_load_dwordx4 a[40:43], v36, s[24:27], 0 offen offset:2048// 000000007BD0: E05C1800 80862824
	v_mfma_f32_16x16x32_fp8_fp8 v[84:87], a[130:131], v[194:195], v[84:87]// 000000007BD8: D3F30054 0D538582
	v_mfma_f32_16x16x32_fp8_fp8 v[84:87], a[132:133], v[196:197], v[84:87]// 000000007BE0: D3F30054 0D538984
	ds_read_b128 v[216:219], v2 offset:8448                    // 000000007BE8: D9FE2100 D8000002
	v_mfma_f32_16x16x32_fp8_fp8 v[84:87], a[134:135], v[198:199], v[84:87]// 000000007BF0: D3F30054 0D538D86
	v_mfma_f32_16x16x32_fp8_fp8 v[84:87], a[136:137], v[200:201], v[84:87]// 000000007BF8: D3F30054 0D539188
	buffer_load_dwordx4 a[44:47], v36, s[24:27], 0 offen offset:3072// 000000007C00: E05C1C00 80862C24
	v_mfma_f32_16x16x32_fp8_fp8 v[84:87], a[138:139], v[202:203], v[84:87]// 000000007C08: D3F30054 0D53958A
	v_mfma_f32_16x16x32_fp8_fp8 v[84:87], a[140:141], v[204:205], v[84:87]// 000000007C10: D3F30054 0D53998C
	ds_read_b128 v[220:223], v2 offset:8512                    // 000000007C18: D9FE2140 DC000002
	v_mfma_f32_16x16x32_fp8_fp8 v[84:87], a[142:143], v[206:207], v[84:87]// 000000007C20: D3F30054 0D539D8E
	s_waitcnt vmcnt(20)                                        // 000000007C28: BF8C4F74
	v_mfma_f32_16x16x32_fp8_fp8 v[88:91], a[144:145], v[176:177], v[88:91]// 000000007C2C: D3F30058 0D636190
	buffer_load_dwordx4 a[48:51], v37, s[24:27], 0 offen       // 000000007C34: E05C1000 80863025
	v_mfma_f32_16x16x32_fp8_fp8 v[88:91], a[146:147], v[178:179], v[88:91]// 000000007C3C: D3F30058 0D636592
	v_mfma_f32_16x16x32_fp8_fp8 v[88:91], a[148:149], v[180:181], v[88:91]// 000000007C44: D3F30058 0D636994
	ds_read_b128 v[224:227], v2 offset:9344                    // 000000007C4C: D9FE2480 E0000002
	v_mfma_f32_16x16x32_fp8_fp8 v[88:91], a[150:151], v[182:183], v[88:91]// 000000007C54: D3F30058 0D636D96
	v_mfma_f32_16x16x32_fp8_fp8 v[88:91], a[152:153], v[184:185], v[88:91]// 000000007C5C: D3F30058 0D637198
	buffer_load_dwordx4 a[52:55], v37, s[24:27], 0 offen offset:1024// 000000007C64: E05C1400 80863425
	v_mfma_f32_16x16x32_fp8_fp8 v[88:91], a[154:155], v[186:187], v[88:91]// 000000007C6C: D3F30058 0D63759A
	v_mfma_f32_16x16x32_fp8_fp8 v[88:91], a[156:157], v[188:189], v[88:91]// 000000007C74: D3F30058 0D63799C
	ds_read_b128 v[228:231], v2 offset:9408                    // 000000007C7C: D9FE24C0 E4000002
	v_mfma_f32_16x16x32_fp8_fp8 v[88:91], a[158:159], v[190:191], v[88:91]// 000000007C84: D3F30058 0D637D9E
	v_mfma_f32_16x16x32_fp8_fp8 v[92:95], a[144:145], v[192:193], v[92:95]// 000000007C8C: D3F3005C 0D738190
	buffer_load_dwordx4 a[56:59], v37, s[24:27], 0 offen offset:2048// 000000007C94: E05C1800 80863825
	v_mfma_f32_16x16x32_fp8_fp8 v[92:95], a[146:147], v[194:195], v[92:95]// 000000007C9C: D3F3005C 0D738592
	v_mfma_f32_16x16x32_fp8_fp8 v[92:95], a[148:149], v[196:197], v[92:95]// 000000007CA4: D3F3005C 0D738994
	ds_read_b128 v[232:235], v2 offset:9472                    // 000000007CAC: D9FE2500 E8000002
	v_mfma_f32_16x16x32_fp8_fp8 v[92:95], a[150:151], v[198:199], v[92:95]// 000000007CB4: D3F3005C 0D738D96
	v_mfma_f32_16x16x32_fp8_fp8 v[92:95], a[152:153], v[200:201], v[92:95]// 000000007CBC: D3F3005C 0D739198
	buffer_load_dwordx4 a[60:63], v37, s[24:27], 0 offen offset:3072// 000000007CC4: E05C1C00 80863C25
	v_mfma_f32_16x16x32_fp8_fp8 v[92:95], a[154:155], v[202:203], v[92:95]// 000000007CCC: D3F3005C 0D73959A
	v_mfma_f32_16x16x32_fp8_fp8 v[92:95], a[156:157], v[204:205], v[92:95]// 000000007CD4: D3F3005C 0D73999C
	ds_read_b128 v[236:239], v2 offset:9536                    // 000000007CDC: D9FE2540 EC000002
	v_mfma_f32_16x16x32_fp8_fp8 v[92:95], a[158:159], v[206:207], v[92:95]// 000000007CE4: D3F3005C 0D739D9E
	s_waitcnt vmcnt(20)                                        // 000000007CEC: BF8C4F74
	v_mfma_f32_16x16x32_fp8_fp8 v[96:99], a[160:161], v[176:177], v[96:99]// 000000007CF0: D3F30060 0D8361A0
	buffer_load_dwordx4 a[64:67], v38, s[24:27], 0 offen       // 000000007CF8: E05C1000 80864026
	v_mfma_f32_16x16x32_fp8_fp8 v[96:99], a[162:163], v[178:179], v[96:99]// 000000007D00: D3F30060 0D8365A2
	v_mfma_f32_16x16x32_fp8_fp8 v[96:99], a[164:165], v[180:181], v[96:99]// 000000007D08: D3F30060 0D8369A4
	v_mfma_f32_16x16x32_fp8_fp8 v[96:99], a[166:167], v[182:183], v[96:99]// 000000007D10: D3F30060 0D836DA6
	v_mfma_f32_16x16x32_fp8_fp8 v[96:99], a[168:169], v[184:185], v[96:99]// 000000007D18: D3F30060 0D8371A8
	buffer_load_dwordx4 a[68:71], v38, s[24:27], 0 offen offset:1024// 000000007D20: E05C1400 80864426
	v_mfma_f32_16x16x32_fp8_fp8 v[96:99], a[170:171], v[186:187], v[96:99]// 000000007D28: D3F30060 0D8375AA
	v_mfma_f32_16x16x32_fp8_fp8 v[96:99], a[172:173], v[188:189], v[96:99]// 000000007D30: D3F30060 0D8379AC
	v_mfma_f32_16x16x32_fp8_fp8 v[96:99], a[174:175], v[190:191], v[96:99]// 000000007D38: D3F30060 0D837DAE
	v_mfma_f32_16x16x32_fp8_fp8 v[100:103], a[160:161], v[192:193], v[100:103]// 000000007D40: D3F30064 0D9381A0
	buffer_load_dwordx4 a[72:75], v38, s[24:27], 0 offen offset:2048// 000000007D48: E05C1800 80864826
	v_mfma_f32_16x16x32_fp8_fp8 v[100:103], a[162:163], v[194:195], v[100:103]// 000000007D50: D3F30064 0D9385A2
	v_mfma_f32_16x16x32_fp8_fp8 v[100:103], a[164:165], v[196:197], v[100:103]// 000000007D58: D3F30064 0D9389A4
	v_mfma_f32_16x16x32_fp8_fp8 v[100:103], a[166:167], v[198:199], v[100:103]// 000000007D60: D3F30064 0D938DA6
	v_mfma_f32_16x16x32_fp8_fp8 v[100:103], a[168:169], v[200:201], v[100:103]// 000000007D68: D3F30064 0D9391A8
	buffer_load_dwordx4 a[76:79], v38, s[24:27], 0 offen offset:3072// 000000007D70: E05C1C00 80864C26
	v_mfma_f32_16x16x32_fp8_fp8 v[100:103], a[170:171], v[202:203], v[100:103]// 000000007D78: D3F30064 0D9395AA
	v_mfma_f32_16x16x32_fp8_fp8 v[100:103], a[172:173], v[204:205], v[100:103]// 000000007D80: D3F30064 0D9399AC
	v_mfma_f32_16x16x32_fp8_fp8 v[100:103], a[174:175], v[206:207], v[100:103]// 000000007D88: D3F30064 0D939DAE
	s_waitcnt vmcnt(20)                                        // 000000007D90: BF8C4F74
	v_mfma_f32_16x16x32_fp8_fp8 v[104:107], a[176:177], v[176:177], v[104:107]// 000000007D94: D3F30068 0DA361B0
	buffer_load_dwordx4 a[80:83], v39, s[24:27], 0 offen       // 000000007D9C: E05C1000 80865027
	v_mfma_f32_16x16x32_fp8_fp8 v[104:107], a[178:179], v[178:179], v[104:107]// 000000007DA4: D3F30068 0DA365B2
	v_mfma_f32_16x16x32_fp8_fp8 v[104:107], a[180:181], v[180:181], v[104:107]// 000000007DAC: D3F30068 0DA369B4
	v_mfma_f32_16x16x32_fp8_fp8 v[104:107], a[182:183], v[182:183], v[104:107]// 000000007DB4: D3F30068 0DA36DB6
	v_mfma_f32_16x16x32_fp8_fp8 v[104:107], a[184:185], v[184:185], v[104:107]// 000000007DBC: D3F30068 0DA371B8
	buffer_load_dwordx4 a[84:87], v39, s[24:27], 0 offen offset:1024// 000000007DC4: E05C1400 80865427
	v_mfma_f32_16x16x32_fp8_fp8 v[104:107], a[186:187], v[186:187], v[104:107]// 000000007DCC: D3F30068 0DA375BA
	v_mfma_f32_16x16x32_fp8_fp8 v[104:107], a[188:189], v[188:189], v[104:107]// 000000007DD4: D3F30068 0DA379BC
	v_mfma_f32_16x16x32_fp8_fp8 v[104:107], a[190:191], v[190:191], v[104:107]// 000000007DDC: D3F30068 0DA37DBE
	v_mfma_f32_16x16x32_fp8_fp8 v[108:111], a[176:177], v[192:193], v[108:111]// 000000007DE4: D3F3006C 0DB381B0
	buffer_load_dwordx4 a[88:91], v39, s[24:27], 0 offen offset:2048// 000000007DEC: E05C1800 80865827
	v_mfma_f32_16x16x32_fp8_fp8 v[108:111], a[178:179], v[194:195], v[108:111]// 000000007DF4: D3F3006C 0DB385B2
	v_mfma_f32_16x16x32_fp8_fp8 v[108:111], a[180:181], v[196:197], v[108:111]// 000000007DFC: D3F3006C 0DB389B4
	v_mfma_f32_16x16x32_fp8_fp8 v[108:111], a[182:183], v[198:199], v[108:111]// 000000007E04: D3F3006C 0DB38DB6
	v_mfma_f32_16x16x32_fp8_fp8 v[108:111], a[184:185], v[200:201], v[108:111]// 000000007E0C: D3F3006C 0DB391B8
	buffer_load_dwordx4 a[92:95], v39, s[24:27], 0 offen offset:3072// 000000007E14: E05C1C00 80865C27
	v_mfma_f32_16x16x32_fp8_fp8 v[108:111], a[186:187], v[202:203], v[108:111]// 000000007E1C: D3F3006C 0DB395BA
	v_mfma_f32_16x16x32_fp8_fp8 v[108:111], a[188:189], v[204:205], v[108:111]// 000000007E24: D3F3006C 0DB399BC
	v_mfma_f32_16x16x32_fp8_fp8 v[108:111], a[190:191], v[206:207], v[108:111]// 000000007E2C: D3F3006C 0DB39DBE
	s_add_u32 s60, 0x200, s80                                  // 000000007E34: 803C50FF 00000200
	s_cmp_lt_u32 s60, s81                                      // 000000007E3C: BF0A513C
	s_cselect_b32 s57, s57, 0                                  // 000000007E40: 85398039
	s_add_u32 s60, 0x200, s80                                  // 000000007E44: 803C50FF 00000200
	s_cmp_lt_u32 s60, s81                                      // 000000007E4C: BF0A513C
	s_cselect_b32 s58, s58, 0                                  // 000000007E50: 853A803A
	s_add_u32 s20, s57, s20                                    // 000000007E54: 80141439
	s_addc_u32 s21, 0, s21                                     // 000000007E58: 82151580
	s_add_u32 s24, s58, s24                                    // 000000007E5C: 8018183A
	s_addc_u32 s25, 0, s25                                     // 000000007E60: 82191980
	s_add_u32 s92, s90, s92                                    // 000000007E64: 805C5C5A
	s_addc_u32 s93, 0, s93                                     // 000000007E68: 825D5D80
	s_addk_i32 s80, 0x100                                      // 000000007E6C: B7500100
	s_cmp_lt_i32 s80, s81                                      // 000000007E70: BF045150
	s_cbranch_scc0 label_164B                                  // 000000007E74: BF84022D
	s_waitcnt vmcnt(16) lgkmcnt(0)                             // 000000007E78: BF8C4070
	s_barrier                                                  // 000000007E7C: BF8A0000
	v_mfma_f32_16x16x32_fp8_fp8 v[128:131], a[0:1], v[208:209], v[128:131]// 000000007E80: D3F30080 0E03A100
	buffer_load_dwordx4 a[96:99], v34, s[92:95], 0 offen       // 000000007E88: E05C1000 80976022
	v_mfma_f32_16x16x32_fp8_fp8 v[128:131], a[2:3], v[210:211], v[128:131]// 000000007E90: D3F30080 0E03A502
	v_mfma_f32_16x16x32_fp8_fp8 v[128:131], a[4:5], v[212:213], v[128:131]// 000000007E98: D3F30080 0E03A904
	buffer_load_dword v26, s[20:23], 0 offen lds               // 000000007EA0: E0511000 8005001A
	s_add_u32 m0, 0x100, s50                                   // 000000007EA8: 807C32FF 00000100
	v_mfma_f32_16x16x32_fp8_fp8 v[128:131], a[6:7], v[214:215], v[128:131]// 000000007EB0: D3F30080 0E03AD06
	v_mfma_f32_16x16x32_fp8_fp8 v[128:131], a[8:9], v[216:217], v[128:131]// 000000007EB8: D3F30080 0E03B108
	buffer_load_dwordx4 a[100:103], v34, s[92:95], 0 offen offset:1024// 000000007EC0: E05C1400 80976422
	v_mfma_f32_16x16x32_fp8_fp8 v[128:131], a[10:11], v[218:219], v[128:131]// 000000007EC8: D3F30080 0E03B50A
	v_mfma_f32_16x16x32_fp8_fp8 v[128:131], a[12:13], v[220:221], v[128:131]// 000000007ED0: D3F30080 0E03B90C
	buffer_load_dword v27, s[20:23], 0 offen lds               // 000000007ED8: E0511000 8005001B
	s_add_u32 m0, 0x200, s50                                   // 000000007EE0: 807C32FF 00000200
	v_mfma_f32_16x16x32_fp8_fp8 v[128:131], a[14:15], v[222:223], v[128:131]// 000000007EE8: D3F30080 0E03BD0E
	v_mfma_f32_16x16x32_fp8_fp8 v[132:135], a[0:1], v[224:225], v[132:135]// 000000007EF0: D3F30084 0E13C100
	buffer_load_dwordx4 a[104:107], v34, s[92:95], 0 offen offset:2048// 000000007EF8: E05C1800 80976822
	v_mfma_f32_16x16x32_fp8_fp8 v[132:135], a[2:3], v[226:227], v[132:135]// 000000007F00: D3F30084 0E13C502
	v_mfma_f32_16x16x32_fp8_fp8 v[132:135], a[4:5], v[228:229], v[132:135]// 000000007F08: D3F30084 0E13C904
	buffer_load_dword v28, s[20:23], 0 offen lds               // 000000007F10: E0511000 8005001C
	s_add_u32 m0, 0x300, s50                                   // 000000007F18: 807C32FF 00000300
	v_mfma_f32_16x16x32_fp8_fp8 v[132:135], a[6:7], v[230:231], v[132:135]// 000000007F20: D3F30084 0E13CD06
	v_mfma_f32_16x16x32_fp8_fp8 v[132:135], a[8:9], v[232:233], v[132:135]// 000000007F28: D3F30084 0E13D108
	buffer_load_dwordx4 a[108:111], v34, s[92:95], 0 offen offset:3072// 000000007F30: E05C1C00 80976C22
	v_mfma_f32_16x16x32_fp8_fp8 v[132:135], a[10:11], v[234:235], v[132:135]// 000000007F38: D3F30084 0E13D50A
	v_mfma_f32_16x16x32_fp8_fp8 v[132:135], a[12:13], v[236:237], v[132:135]// 000000007F40: D3F30084 0E13D90C
	buffer_load_dword v29, s[20:23], 0 offen lds               // 000000007F48: E0511000 8005001D
	s_add_u32 m0, 0x400, s50                                   // 000000007F50: 807C32FF 00000400
	v_mfma_f32_16x16x32_fp8_fp8 v[132:135], a[14:15], v[238:239], v[132:135]// 000000007F58: D3F30084 0E13DD0E
	v_mfma_f32_16x16x32_fp8_fp8 v[136:139], a[16:17], v[208:209], v[136:139]// 000000007F60: D3F30088 0E23A110
	buffer_load_dwordx4 a[112:115], v35, s[92:95], 0 offen     // 000000007F68: E05C1000 80977023
	v_mfma_f32_16x16x32_fp8_fp8 v[136:139], a[18:19], v[210:211], v[136:139]// 000000007F70: D3F30088 0E23A512
	v_mfma_f32_16x16x32_fp8_fp8 v[136:139], a[20:21], v[212:213], v[136:139]// 000000007F78: D3F30088 0E23A914
	buffer_load_dword v30, s[20:23], 0 offen lds               // 000000007F80: E0511000 8005001E
	s_add_u32 m0, 0x500, s50                                   // 000000007F88: 807C32FF 00000500
	v_mfma_f32_16x16x32_fp8_fp8 v[136:139], a[22:23], v[214:215], v[136:139]// 000000007F90: D3F30088 0E23AD16
	v_mfma_f32_16x16x32_fp8_fp8 v[136:139], a[24:25], v[216:217], v[136:139]// 000000007F98: D3F30088 0E23B118
	buffer_load_dwordx4 a[116:119], v35, s[92:95], 0 offen offset:1024// 000000007FA0: E05C1400 80977423
	v_mfma_f32_16x16x32_fp8_fp8 v[136:139], a[26:27], v[218:219], v[136:139]// 000000007FA8: D3F30088 0E23B51A
	v_mfma_f32_16x16x32_fp8_fp8 v[136:139], a[28:29], v[220:221], v[136:139]// 000000007FB0: D3F30088 0E23B91C
	buffer_load_dword v31, s[20:23], 0 offen lds               // 000000007FB8: E0511000 8005001F
	s_add_u32 m0, 0x600, s50                                   // 000000007FC0: 807C32FF 00000600
	v_mfma_f32_16x16x32_fp8_fp8 v[136:139], a[30:31], v[222:223], v[136:139]// 000000007FC8: D3F30088 0E23BD1E
	v_mfma_f32_16x16x32_fp8_fp8 v[140:143], a[16:17], v[224:225], v[140:143]// 000000007FD0: D3F3008C 0E33C110
	buffer_load_dwordx4 a[120:123], v35, s[92:95], 0 offen offset:2048// 000000007FD8: E05C1800 80977823
	v_mfma_f32_16x16x32_fp8_fp8 v[140:143], a[18:19], v[226:227], v[140:143]// 000000007FE0: D3F3008C 0E33C512
	v_mfma_f32_16x16x32_fp8_fp8 v[140:143], a[20:21], v[228:229], v[140:143]// 000000007FE8: D3F3008C 0E33C914
	buffer_load_dword v32, s[20:23], 0 offen lds               // 000000007FF0: E0511000 80050020
	s_add_u32 m0, 0x700, s50                                   // 000000007FF8: 807C32FF 00000700
	v_mfma_f32_16x16x32_fp8_fp8 v[140:143], a[22:23], v[230:231], v[140:143]// 000000008000: D3F3008C 0E33CD16
	v_mfma_f32_16x16x32_fp8_fp8 v[140:143], a[24:25], v[232:233], v[140:143]// 000000008008: D3F3008C 0E33D118
	buffer_load_dwordx4 a[124:127], v35, s[92:95], 0 offen offset:3072// 000000008010: E05C1C00 80977C23
	v_mfma_f32_16x16x32_fp8_fp8 v[140:143], a[26:27], v[234:235], v[140:143]// 000000008018: D3F3008C 0E33D51A
	v_mfma_f32_16x16x32_fp8_fp8 v[140:143], a[28:29], v[236:237], v[140:143]// 000000008020: D3F3008C 0E33D91C
	buffer_load_dword v33, s[20:23], 0 offen lds               // 000000008028: E0511000 80050021
	s_add_u32 m0, 0, s51                                       // 000000008030: 807C3380
	v_mfma_f32_16x16x32_fp8_fp8 v[140:143], a[30:31], v[238:239], v[140:143]// 000000008034: D3F3008C 0E33DD1E
	s_waitcnt vmcnt(28)                                        // 00000000803C: BF8C4F7C
	v_mfma_f32_16x16x32_fp8_fp8 v[144:147], a[32:33], v[208:209], v[144:147]// 000000008040: D3F30090 0E43A120
	buffer_load_dwordx4 a[128:131], v36, s[92:95], 0 offen     // 000000008048: E05C1000 80978024
	v_mfma_f32_16x16x32_fp8_fp8 v[144:147], a[34:35], v[210:211], v[144:147]// 000000008050: D3F30090 0E43A522
	v_mfma_f32_16x16x32_fp8_fp8 v[144:147], a[36:37], v[212:213], v[144:147]// 000000008058: D3F30090 0E43A924
	v_mfma_f32_16x16x32_fp8_fp8 v[144:147], a[38:39], v[214:215], v[144:147]// 000000008060: D3F30090 0E43AD26
	v_mfma_f32_16x16x32_fp8_fp8 v[144:147], a[40:41], v[216:217], v[144:147]// 000000008068: D3F30090 0E43B128
	buffer_load_dwordx4 a[132:135], v36, s[92:95], 0 offen offset:1024// 000000008070: E05C1400 80978424
	v_mfma_f32_16x16x32_fp8_fp8 v[144:147], a[42:43], v[218:219], v[144:147]// 000000008078: D3F30090 0E43B52A
	v_mfma_f32_16x16x32_fp8_fp8 v[144:147], a[44:45], v[220:221], v[144:147]// 000000008080: D3F30090 0E43B92C
	v_mfma_f32_16x16x32_fp8_fp8 v[144:147], a[46:47], v[222:223], v[144:147]// 000000008088: D3F30090 0E43BD2E
	v_mfma_f32_16x16x32_fp8_fp8 v[148:151], a[32:33], v[224:225], v[148:151]// 000000008090: D3F30094 0E53C120
	buffer_load_dwordx4 a[136:139], v36, s[92:95], 0 offen offset:2048// 000000008098: E05C1800 80978824
	v_mfma_f32_16x16x32_fp8_fp8 v[148:151], a[34:35], v[226:227], v[148:151]// 0000000080A0: D3F30094 0E53C522
	v_mfma_f32_16x16x32_fp8_fp8 v[148:151], a[36:37], v[228:229], v[148:151]// 0000000080A8: D3F30094 0E53C924
	v_mfma_f32_16x16x32_fp8_fp8 v[148:151], a[38:39], v[230:231], v[148:151]// 0000000080B0: D3F30094 0E53CD26
	v_mfma_f32_16x16x32_fp8_fp8 v[148:151], a[40:41], v[232:233], v[148:151]// 0000000080B8: D3F30094 0E53D128
	buffer_load_dwordx4 a[140:143], v36, s[92:95], 0 offen offset:3072// 0000000080C0: E05C1C00 80978C24
	v_mfma_f32_16x16x32_fp8_fp8 v[148:151], a[42:43], v[234:235], v[148:151]// 0000000080C8: D3F30094 0E53D52A
	v_mfma_f32_16x16x32_fp8_fp8 v[148:151], a[44:45], v[236:237], v[148:151]// 0000000080D0: D3F30094 0E53D92C
	v_mfma_f32_16x16x32_fp8_fp8 v[148:151], a[46:47], v[238:239], v[148:151]// 0000000080D8: D3F30094 0E53DD2E
	s_waitcnt vmcnt(28)                                        // 0000000080E0: BF8C4F7C
	v_mfma_f32_16x16x32_fp8_fp8 v[152:155], a[48:49], v[208:209], v[152:155]// 0000000080E4: D3F30098 0E63A130
	buffer_load_dwordx4 a[144:147], v37, s[92:95], 0 offen     // 0000000080EC: E05C1000 80979025
	v_mfma_f32_16x16x32_fp8_fp8 v[152:155], a[50:51], v[210:211], v[152:155]// 0000000080F4: D3F30098 0E63A532
	v_mfma_f32_16x16x32_fp8_fp8 v[152:155], a[52:53], v[212:213], v[152:155]// 0000000080FC: D3F30098 0E63A934
	v_mfma_f32_16x16x32_fp8_fp8 v[152:155], a[54:55], v[214:215], v[152:155]// 000000008104: D3F30098 0E63AD36
	v_mfma_f32_16x16x32_fp8_fp8 v[152:155], a[56:57], v[216:217], v[152:155]// 00000000810C: D3F30098 0E63B138
	buffer_load_dwordx4 a[148:151], v37, s[92:95], 0 offen offset:1024// 000000008114: E05C1400 80979425
	v_mfma_f32_16x16x32_fp8_fp8 v[152:155], a[58:59], v[218:219], v[152:155]// 00000000811C: D3F30098 0E63B53A
	v_mfma_f32_16x16x32_fp8_fp8 v[152:155], a[60:61], v[220:221], v[152:155]// 000000008124: D3F30098 0E63B93C
	v_mfma_f32_16x16x32_fp8_fp8 v[152:155], a[62:63], v[222:223], v[152:155]// 00000000812C: D3F30098 0E63BD3E
	v_mfma_f32_16x16x32_fp8_fp8 v[156:159], a[48:49], v[224:225], v[156:159]// 000000008134: D3F3009C 0E73C130
	buffer_load_dwordx4 a[152:155], v37, s[92:95], 0 offen offset:2048// 00000000813C: E05C1800 80979825
	v_mfma_f32_16x16x32_fp8_fp8 v[156:159], a[50:51], v[226:227], v[156:159]// 000000008144: D3F3009C 0E73C532
	v_mfma_f32_16x16x32_fp8_fp8 v[156:159], a[52:53], v[228:229], v[156:159]// 00000000814C: D3F3009C 0E73C934
	v_mfma_f32_16x16x32_fp8_fp8 v[156:159], a[54:55], v[230:231], v[156:159]// 000000008154: D3F3009C 0E73CD36
	v_mfma_f32_16x16x32_fp8_fp8 v[156:159], a[56:57], v[232:233], v[156:159]// 00000000815C: D3F3009C 0E73D138
	buffer_load_dwordx4 a[156:159], v37, s[92:95], 0 offen offset:3072// 000000008164: E05C1C00 80979C25
	v_mfma_f32_16x16x32_fp8_fp8 v[156:159], a[58:59], v[234:235], v[156:159]// 00000000816C: D3F3009C 0E73D53A
	v_mfma_f32_16x16x32_fp8_fp8 v[156:159], a[60:61], v[236:237], v[156:159]// 000000008174: D3F3009C 0E73D93C
	v_mfma_f32_16x16x32_fp8_fp8 v[156:159], a[62:63], v[238:239], v[156:159]// 00000000817C: D3F3009C 0E73DD3E
	s_waitcnt vmcnt(28)                                        // 000000008184: BF8C4F7C
	v_mfma_f32_16x16x32_fp8_fp8 v[160:163], a[64:65], v[208:209], v[160:163]// 000000008188: D3F300A0 0E83A140
	buffer_load_dwordx4 a[160:163], v38, s[92:95], 0 offen     // 000000008190: E05C1000 8097A026
	v_mfma_f32_16x16x32_fp8_fp8 v[160:163], a[66:67], v[210:211], v[160:163]// 000000008198: D3F300A0 0E83A542
	v_mfma_f32_16x16x32_fp8_fp8 v[160:163], a[68:69], v[212:213], v[160:163]// 0000000081A0: D3F300A0 0E83A944
	v_mfma_f32_16x16x32_fp8_fp8 v[160:163], a[70:71], v[214:215], v[160:163]// 0000000081A8: D3F300A0 0E83AD46
	v_mfma_f32_16x16x32_fp8_fp8 v[160:163], a[72:73], v[216:217], v[160:163]// 0000000081B0: D3F300A0 0E83B148
	buffer_load_dwordx4 a[164:167], v38, s[92:95], 0 offen offset:1024// 0000000081B8: E05C1400 8097A426
	v_mfma_f32_16x16x32_fp8_fp8 v[160:163], a[74:75], v[218:219], v[160:163]// 0000000081C0: D3F300A0 0E83B54A
	v_mfma_f32_16x16x32_fp8_fp8 v[160:163], a[76:77], v[220:221], v[160:163]// 0000000081C8: D3F300A0 0E83B94C
	v_mfma_f32_16x16x32_fp8_fp8 v[160:163], a[78:79], v[222:223], v[160:163]// 0000000081D0: D3F300A0 0E83BD4E
	v_mfma_f32_16x16x32_fp8_fp8 v[164:167], a[64:65], v[224:225], v[164:167]// 0000000081D8: D3F300A4 0E93C140
	buffer_load_dwordx4 a[168:171], v38, s[92:95], 0 offen offset:2048// 0000000081E0: E05C1800 8097A826
	v_mfma_f32_16x16x32_fp8_fp8 v[164:167], a[66:67], v[226:227], v[164:167]// 0000000081E8: D3F300A4 0E93C542
	v_mfma_f32_16x16x32_fp8_fp8 v[164:167], a[68:69], v[228:229], v[164:167]// 0000000081F0: D3F300A4 0E93C944
	v_mfma_f32_16x16x32_fp8_fp8 v[164:167], a[70:71], v[230:231], v[164:167]// 0000000081F8: D3F300A4 0E93CD46
	v_mfma_f32_16x16x32_fp8_fp8 v[164:167], a[72:73], v[232:233], v[164:167]// 000000008200: D3F300A4 0E93D148
	buffer_load_dwordx4 a[172:175], v38, s[92:95], 0 offen offset:3072// 000000008208: E05C1C00 8097AC26
	v_mfma_f32_16x16x32_fp8_fp8 v[164:167], a[74:75], v[234:235], v[164:167]// 000000008210: D3F300A4 0E93D54A
	v_mfma_f32_16x16x32_fp8_fp8 v[164:167], a[76:77], v[236:237], v[164:167]// 000000008218: D3F300A4 0E93D94C
	v_mfma_f32_16x16x32_fp8_fp8 v[164:167], a[78:79], v[238:239], v[164:167]// 000000008220: D3F300A4 0E93DD4E
	s_waitcnt vmcnt(28)                                        // 000000008228: BF8C4F7C
	v_mfma_f32_16x16x32_fp8_fp8 v[168:171], a[80:81], v[208:209], v[168:171]// 00000000822C: D3F300A8 0EA3A150
	buffer_load_dwordx4 a[176:179], v39, s[92:95], 0 offen     // 000000008234: E05C1000 8097B027
	v_mfma_f32_16x16x32_fp8_fp8 v[168:171], a[82:83], v[210:211], v[168:171]// 00000000823C: D3F300A8 0EA3A552
	v_mfma_f32_16x16x32_fp8_fp8 v[168:171], a[84:85], v[212:213], v[168:171]// 000000008244: D3F300A8 0EA3A954
	v_mfma_f32_16x16x32_fp8_fp8 v[168:171], a[86:87], v[214:215], v[168:171]// 00000000824C: D3F300A8 0EA3AD56
	v_mfma_f32_16x16x32_fp8_fp8 v[168:171], a[88:89], v[216:217], v[168:171]// 000000008254: D3F300A8 0EA3B158
	buffer_load_dwordx4 a[180:183], v39, s[92:95], 0 offen offset:1024// 00000000825C: E05C1400 8097B427
	v_mfma_f32_16x16x32_fp8_fp8 v[168:171], a[90:91], v[218:219], v[168:171]// 000000008264: D3F300A8 0EA3B55A
	v_mfma_f32_16x16x32_fp8_fp8 v[168:171], a[92:93], v[220:221], v[168:171]// 00000000826C: D3F300A8 0EA3B95C
	v_mfma_f32_16x16x32_fp8_fp8 v[168:171], a[94:95], v[222:223], v[168:171]// 000000008274: D3F300A8 0EA3BD5E
	v_mfma_f32_16x16x32_fp8_fp8 v[172:175], a[80:81], v[224:225], v[172:175]// 00000000827C: D3F300AC 0EB3C150
	buffer_load_dwordx4 a[184:187], v39, s[92:95], 0 offen offset:2048// 000000008284: E05C1800 8097B827
	v_mfma_f32_16x16x32_fp8_fp8 v[172:175], a[82:83], v[226:227], v[172:175]// 00000000828C: D3F300AC 0EB3C552
	v_mfma_f32_16x16x32_fp8_fp8 v[172:175], a[84:85], v[228:229], v[172:175]// 000000008294: D3F300AC 0EB3C954
	v_mfma_f32_16x16x32_fp8_fp8 v[172:175], a[86:87], v[230:231], v[172:175]// 00000000829C: D3F300AC 0EB3CD56
	v_mfma_f32_16x16x32_fp8_fp8 v[172:175], a[88:89], v[232:233], v[172:175]// 0000000082A4: D3F300AC 0EB3D158
	buffer_load_dwordx4 a[188:191], v39, s[92:95], 0 offen offset:3072// 0000000082AC: E05C1C00 8097BC27
	v_mfma_f32_16x16x32_fp8_fp8 v[172:175], a[90:91], v[234:235], v[172:175]// 0000000082B4: D3F300AC 0EB3D55A
	v_mfma_f32_16x16x32_fp8_fp8 v[172:175], a[92:93], v[236:237], v[172:175]// 0000000082BC: D3F300AC 0EB3D95C
	v_mfma_f32_16x16x32_fp8_fp8 v[172:175], a[94:95], v[238:239], v[172:175]// 0000000082C4: D3F300AC 0EB3DD5E
	s_waitcnt vmcnt(16)                                        // 0000000082CC: BF8C4F70
	s_barrier                                                  // 0000000082D0: BF8A0000
	v_mfma_f32_16x16x32_fp8_fp8 v[64:67], a[96:97], v[208:209], v[64:67]// 0000000082D4: D3F30040 0D03A160
	buffer_load_dwordx4 a[0:3], v34, s[24:27], 0 offen         // 0000000082DC: E05C1000 80860022
	v_mfma_f32_16x16x32_fp8_fp8 v[64:67], a[98:99], v[210:211], v[64:67]// 0000000082E4: D3F30040 0D03A562
	v_mfma_f32_16x16x32_fp8_fp8 v[64:67], a[100:101], v[212:213], v[64:67]// 0000000082EC: D3F30040 0D03A964
	v_mfma_f32_16x16x32_fp8_fp8 v[64:67], a[102:103], v[214:215], v[64:67]// 0000000082F4: D3F30040 0D03AD66
	v_mfma_f32_16x16x32_fp8_fp8 v[64:67], a[104:105], v[216:217], v[64:67]// 0000000082FC: D3F30040 0D03B168
	buffer_load_dwordx4 a[4:7], v34, s[24:27], 0 offen offset:1024// 000000008304: E05C1400 80860422
	v_mfma_f32_16x16x32_fp8_fp8 v[64:67], a[106:107], v[218:219], v[64:67]// 00000000830C: D3F30040 0D03B56A
	v_mfma_f32_16x16x32_fp8_fp8 v[64:67], a[108:109], v[220:221], v[64:67]// 000000008314: D3F30040 0D03B96C
	v_mfma_f32_16x16x32_fp8_fp8 v[64:67], a[110:111], v[222:223], v[64:67]// 00000000831C: D3F30040 0D03BD6E
	v_mfma_f32_16x16x32_fp8_fp8 v[68:71], a[96:97], v[224:225], v[68:71]// 000000008324: D3F30044 0D13C160
	buffer_load_dwordx4 a[8:11], v34, s[24:27], 0 offen offset:2048// 00000000832C: E05C1800 80860822
	v_mfma_f32_16x16x32_fp8_fp8 v[68:71], a[98:99], v[226:227], v[68:71]// 000000008334: D3F30044 0D13C562
	v_mfma_f32_16x16x32_fp8_fp8 v[68:71], a[100:101], v[228:229], v[68:71]// 00000000833C: D3F30044 0D13C964
	v_mfma_f32_16x16x32_fp8_fp8 v[68:71], a[102:103], v[230:231], v[68:71]// 000000008344: D3F30044 0D13CD66
	v_mfma_f32_16x16x32_fp8_fp8 v[68:71], a[104:105], v[232:233], v[68:71]// 00000000834C: D3F30044 0D13D168
	buffer_load_dwordx4 a[12:15], v34, s[24:27], 0 offen offset:3072// 000000008354: E05C1C00 80860C22
	v_mfma_f32_16x16x32_fp8_fp8 v[68:71], a[106:107], v[234:235], v[68:71]// 00000000835C: D3F30044 0D13D56A
	v_mfma_f32_16x16x32_fp8_fp8 v[68:71], a[108:109], v[236:237], v[68:71]// 000000008364: D3F30044 0D13D96C
	v_mfma_f32_16x16x32_fp8_fp8 v[68:71], a[110:111], v[238:239], v[68:71]// 00000000836C: D3F30044 0D13DD6E
	v_mfma_f32_16x16x32_fp8_fp8 v[72:75], a[112:113], v[208:209], v[72:75]// 000000008374: D3F30048 0D23A170
	buffer_load_dwordx4 a[16:19], v35, s[24:27], 0 offen       // 00000000837C: E05C1000 80861023
	v_mfma_f32_16x16x32_fp8_fp8 v[72:75], a[114:115], v[210:211], v[72:75]// 000000008384: D3F30048 0D23A572
	v_mfma_f32_16x16x32_fp8_fp8 v[72:75], a[116:117], v[212:213], v[72:75]// 00000000838C: D3F30048 0D23A974
	v_mfma_f32_16x16x32_fp8_fp8 v[72:75], a[118:119], v[214:215], v[72:75]// 000000008394: D3F30048 0D23AD76
	v_mfma_f32_16x16x32_fp8_fp8 v[72:75], a[120:121], v[216:217], v[72:75]// 00000000839C: D3F30048 0D23B178
	buffer_load_dwordx4 a[20:23], v35, s[24:27], 0 offen offset:1024// 0000000083A4: E05C1400 80861423
	v_mfma_f32_16x16x32_fp8_fp8 v[72:75], a[122:123], v[218:219], v[72:75]// 0000000083AC: D3F30048 0D23B57A
	v_mfma_f32_16x16x32_fp8_fp8 v[72:75], a[124:125], v[220:221], v[72:75]// 0000000083B4: D3F30048 0D23B97C
	v_mfma_f32_16x16x32_fp8_fp8 v[72:75], a[126:127], v[222:223], v[72:75]// 0000000083BC: D3F30048 0D23BD7E
	v_mfma_f32_16x16x32_fp8_fp8 v[76:79], a[112:113], v[224:225], v[76:79]// 0000000083C4: D3F3004C 0D33C170
	buffer_load_dwordx4 a[24:27], v35, s[24:27], 0 offen offset:2048// 0000000083CC: E05C1800 80861823
	v_mfma_f32_16x16x32_fp8_fp8 v[76:79], a[114:115], v[226:227], v[76:79]// 0000000083D4: D3F3004C 0D33C572
	v_mfma_f32_16x16x32_fp8_fp8 v[76:79], a[116:117], v[228:229], v[76:79]// 0000000083DC: D3F3004C 0D33C974
	v_mfma_f32_16x16x32_fp8_fp8 v[76:79], a[118:119], v[230:231], v[76:79]// 0000000083E4: D3F3004C 0D33CD76
	v_mfma_f32_16x16x32_fp8_fp8 v[76:79], a[120:121], v[232:233], v[76:79]// 0000000083EC: D3F3004C 0D33D178
	buffer_load_dwordx4 a[28:31], v35, s[24:27], 0 offen offset:3072// 0000000083F4: E05C1C00 80861C23
	v_mfma_f32_16x16x32_fp8_fp8 v[76:79], a[122:123], v[234:235], v[76:79]// 0000000083FC: D3F3004C 0D33D57A
	v_mfma_f32_16x16x32_fp8_fp8 v[76:79], a[124:125], v[236:237], v[76:79]// 000000008404: D3F3004C 0D33D97C
	v_mfma_f32_16x16x32_fp8_fp8 v[76:79], a[126:127], v[238:239], v[76:79]// 00000000840C: D3F3004C 0D33DD7E
	s_waitcnt vmcnt(20)                                        // 000000008414: BF8C4F74
	v_mfma_f32_16x16x32_fp8_fp8 v[80:83], a[128:129], v[208:209], v[80:83]// 000000008418: D3F30050 0D43A180
	buffer_load_dwordx4 a[32:35], v36, s[24:27], 0 offen       // 000000008420: E05C1000 80862024
	v_mfma_f32_16x16x32_fp8_fp8 v[80:83], a[130:131], v[210:211], v[80:83]// 000000008428: D3F30050 0D43A582
	v_mfma_f32_16x16x32_fp8_fp8 v[80:83], a[132:133], v[212:213], v[80:83]// 000000008430: D3F30050 0D43A984
	ds_read_b128 v[176:179], v2                                // 000000008438: D9FE0000 B0000002
	v_mfma_f32_16x16x32_fp8_fp8 v[80:83], a[134:135], v[214:215], v[80:83]// 000000008440: D3F30050 0D43AD86
	v_mfma_f32_16x16x32_fp8_fp8 v[80:83], a[136:137], v[216:217], v[80:83]// 000000008448: D3F30050 0D43B188
	buffer_load_dwordx4 a[36:39], v36, s[24:27], 0 offen offset:1024// 000000008450: E05C1400 80862424
	v_mfma_f32_16x16x32_fp8_fp8 v[80:83], a[138:139], v[218:219], v[80:83]// 000000008458: D3F30050 0D43B58A
	v_mfma_f32_16x16x32_fp8_fp8 v[80:83], a[140:141], v[220:221], v[80:83]// 000000008460: D3F30050 0D43B98C
	ds_read_b128 v[180:183], v2 offset:64                      // 000000008468: D9FE0040 B4000002
	v_mfma_f32_16x16x32_fp8_fp8 v[80:83], a[142:143], v[222:223], v[80:83]// 000000008470: D3F30050 0D43BD8E
	v_mfma_f32_16x16x32_fp8_fp8 v[84:87], a[128:129], v[224:225], v[84:87]// 000000008478: D3F30054 0D53C180
	buffer_load_dwordx4 a[40:43], v36, s[24:27], 0 offen offset:2048// 000000008480: E05C1800 80862824
	v_mfma_f32_16x16x32_fp8_fp8 v[84:87], a[130:131], v[226:227], v[84:87]// 000000008488: D3F30054 0D53C582
	v_mfma_f32_16x16x32_fp8_fp8 v[84:87], a[132:133], v[228:229], v[84:87]// 000000008490: D3F30054 0D53C984
	ds_read_b128 v[184:187], v2 offset:128                     // 000000008498: D9FE0080 B8000002
	v_mfma_f32_16x16x32_fp8_fp8 v[84:87], a[134:135], v[230:231], v[84:87]// 0000000084A0: D3F30054 0D53CD86
	v_mfma_f32_16x16x32_fp8_fp8 v[84:87], a[136:137], v[232:233], v[84:87]// 0000000084A8: D3F30054 0D53D188
	buffer_load_dwordx4 a[44:47], v36, s[24:27], 0 offen offset:3072// 0000000084B0: E05C1C00 80862C24
	v_mfma_f32_16x16x32_fp8_fp8 v[84:87], a[138:139], v[234:235], v[84:87]// 0000000084B8: D3F30054 0D53D58A
	v_mfma_f32_16x16x32_fp8_fp8 v[84:87], a[140:141], v[236:237], v[84:87]// 0000000084C0: D3F30054 0D53D98C
	ds_read_b128 v[188:191], v2 offset:192                     // 0000000084C8: D9FE00C0 BC000002
	v_mfma_f32_16x16x32_fp8_fp8 v[84:87], a[142:143], v[238:239], v[84:87]// 0000000084D0: D3F30054 0D53DD8E
	s_waitcnt vmcnt(20)                                        // 0000000084D8: BF8C4F74
	v_mfma_f32_16x16x32_fp8_fp8 v[88:91], a[144:145], v[208:209], v[88:91]// 0000000084DC: D3F30058 0D63A190
	buffer_load_dwordx4 a[48:51], v37, s[24:27], 0 offen       // 0000000084E4: E05C1000 80863025
	v_mfma_f32_16x16x32_fp8_fp8 v[88:91], a[146:147], v[210:211], v[88:91]// 0000000084EC: D3F30058 0D63A592
	v_mfma_f32_16x16x32_fp8_fp8 v[88:91], a[148:149], v[212:213], v[88:91]// 0000000084F4: D3F30058 0D63A994
	ds_read_b128 v[192:195], v2 offset:1024                    // 0000000084FC: D9FE0400 C0000002
	v_mfma_f32_16x16x32_fp8_fp8 v[88:91], a[150:151], v[214:215], v[88:91]// 000000008504: D3F30058 0D63AD96
	v_mfma_f32_16x16x32_fp8_fp8 v[88:91], a[152:153], v[216:217], v[88:91]// 00000000850C: D3F30058 0D63B198
	buffer_load_dwordx4 a[52:55], v37, s[24:27], 0 offen offset:1024// 000000008514: E05C1400 80863425
	v_mfma_f32_16x16x32_fp8_fp8 v[88:91], a[154:155], v[218:219], v[88:91]// 00000000851C: D3F30058 0D63B59A
	v_mfma_f32_16x16x32_fp8_fp8 v[88:91], a[156:157], v[220:221], v[88:91]// 000000008524: D3F30058 0D63B99C
	ds_read_b128 v[196:199], v2 offset:1088                    // 00000000852C: D9FE0440 C4000002
	v_mfma_f32_16x16x32_fp8_fp8 v[88:91], a[158:159], v[222:223], v[88:91]// 000000008534: D3F30058 0D63BD9E
	v_mfma_f32_16x16x32_fp8_fp8 v[92:95], a[144:145], v[224:225], v[92:95]// 00000000853C: D3F3005C 0D73C190
	buffer_load_dwordx4 a[56:59], v37, s[24:27], 0 offen offset:2048// 000000008544: E05C1800 80863825
	v_mfma_f32_16x16x32_fp8_fp8 v[92:95], a[146:147], v[226:227], v[92:95]// 00000000854C: D3F3005C 0D73C592
	v_mfma_f32_16x16x32_fp8_fp8 v[92:95], a[148:149], v[228:229], v[92:95]// 000000008554: D3F3005C 0D73C994
	ds_read_b128 v[200:203], v2 offset:1152                    // 00000000855C: D9FE0480 C8000002
	v_mfma_f32_16x16x32_fp8_fp8 v[92:95], a[150:151], v[230:231], v[92:95]// 000000008564: D3F3005C 0D73CD96
	v_mfma_f32_16x16x32_fp8_fp8 v[92:95], a[152:153], v[232:233], v[92:95]// 00000000856C: D3F3005C 0D73D198
	buffer_load_dwordx4 a[60:63], v37, s[24:27], 0 offen offset:3072// 000000008574: E05C1C00 80863C25
	v_mfma_f32_16x16x32_fp8_fp8 v[92:95], a[154:155], v[234:235], v[92:95]// 00000000857C: D3F3005C 0D73D59A
	v_mfma_f32_16x16x32_fp8_fp8 v[92:95], a[156:157], v[236:237], v[92:95]// 000000008584: D3F3005C 0D73D99C
	ds_read_b128 v[204:207], v2 offset:1216                    // 00000000858C: D9FE04C0 CC000002
	v_mfma_f32_16x16x32_fp8_fp8 v[92:95], a[158:159], v[238:239], v[92:95]// 000000008594: D3F3005C 0D73DD9E
	s_waitcnt vmcnt(20)                                        // 00000000859C: BF8C4F74
	v_mfma_f32_16x16x32_fp8_fp8 v[96:99], a[160:161], v[208:209], v[96:99]// 0000000085A0: D3F30060 0D83A1A0
	buffer_load_dwordx4 a[64:67], v38, s[24:27], 0 offen       // 0000000085A8: E05C1000 80864026
	v_mfma_f32_16x16x32_fp8_fp8 v[96:99], a[162:163], v[210:211], v[96:99]// 0000000085B0: D3F30060 0D83A5A2
	v_mfma_f32_16x16x32_fp8_fp8 v[96:99], a[164:165], v[212:213], v[96:99]// 0000000085B8: D3F30060 0D83A9A4
	v_mfma_f32_16x16x32_fp8_fp8 v[96:99], a[166:167], v[214:215], v[96:99]// 0000000085C0: D3F30060 0D83ADA6
	v_mfma_f32_16x16x32_fp8_fp8 v[96:99], a[168:169], v[216:217], v[96:99]// 0000000085C8: D3F30060 0D83B1A8
	buffer_load_dwordx4 a[68:71], v38, s[24:27], 0 offen offset:1024// 0000000085D0: E05C1400 80864426
	v_mfma_f32_16x16x32_fp8_fp8 v[96:99], a[170:171], v[218:219], v[96:99]// 0000000085D8: D3F30060 0D83B5AA
	v_mfma_f32_16x16x32_fp8_fp8 v[96:99], a[172:173], v[220:221], v[96:99]// 0000000085E0: D3F30060 0D83B9AC
	v_mfma_f32_16x16x32_fp8_fp8 v[96:99], a[174:175], v[222:223], v[96:99]// 0000000085E8: D3F30060 0D83BDAE
	v_mfma_f32_16x16x32_fp8_fp8 v[100:103], a[160:161], v[224:225], v[100:103]// 0000000085F0: D3F30064 0D93C1A0
	buffer_load_dwordx4 a[72:75], v38, s[24:27], 0 offen offset:2048// 0000000085F8: E05C1800 80864826
	v_mfma_f32_16x16x32_fp8_fp8 v[100:103], a[162:163], v[226:227], v[100:103]// 000000008600: D3F30064 0D93C5A2
	v_mfma_f32_16x16x32_fp8_fp8 v[100:103], a[164:165], v[228:229], v[100:103]// 000000008608: D3F30064 0D93C9A4
	v_mfma_f32_16x16x32_fp8_fp8 v[100:103], a[166:167], v[230:231], v[100:103]// 000000008610: D3F30064 0D93CDA6
	v_mfma_f32_16x16x32_fp8_fp8 v[100:103], a[168:169], v[232:233], v[100:103]// 000000008618: D3F30064 0D93D1A8
	buffer_load_dwordx4 a[76:79], v38, s[24:27], 0 offen offset:3072// 000000008620: E05C1C00 80864C26
	v_mfma_f32_16x16x32_fp8_fp8 v[100:103], a[170:171], v[234:235], v[100:103]// 000000008628: D3F30064 0D93D5AA
	v_mfma_f32_16x16x32_fp8_fp8 v[100:103], a[172:173], v[236:237], v[100:103]// 000000008630: D3F30064 0D93D9AC
	v_mfma_f32_16x16x32_fp8_fp8 v[100:103], a[174:175], v[238:239], v[100:103]// 000000008638: D3F30064 0D93DDAE
	s_waitcnt vmcnt(20)                                        // 000000008640: BF8C4F74
	v_mfma_f32_16x16x32_fp8_fp8 v[104:107], a[176:177], v[208:209], v[104:107]// 000000008644: D3F30068 0DA3A1B0
	buffer_load_dwordx4 a[80:83], v39, s[24:27], 0 offen       // 00000000864C: E05C1000 80865027
	v_mfma_f32_16x16x32_fp8_fp8 v[104:107], a[178:179], v[210:211], v[104:107]// 000000008654: D3F30068 0DA3A5B2
	v_mfma_f32_16x16x32_fp8_fp8 v[104:107], a[180:181], v[212:213], v[104:107]// 00000000865C: D3F30068 0DA3A9B4
	v_mfma_f32_16x16x32_fp8_fp8 v[104:107], a[182:183], v[214:215], v[104:107]// 000000008664: D3F30068 0DA3ADB6
	v_mfma_f32_16x16x32_fp8_fp8 v[104:107], a[184:185], v[216:217], v[104:107]// 00000000866C: D3F30068 0DA3B1B8
	buffer_load_dwordx4 a[84:87], v39, s[24:27], 0 offen offset:1024// 000000008674: E05C1400 80865427
	v_mfma_f32_16x16x32_fp8_fp8 v[104:107], a[186:187], v[218:219], v[104:107]// 00000000867C: D3F30068 0DA3B5BA
	v_mfma_f32_16x16x32_fp8_fp8 v[104:107], a[188:189], v[220:221], v[104:107]// 000000008684: D3F30068 0DA3B9BC
	v_mfma_f32_16x16x32_fp8_fp8 v[104:107], a[190:191], v[222:223], v[104:107]// 00000000868C: D3F30068 0DA3BDBE
	v_mfma_f32_16x16x32_fp8_fp8 v[108:111], a[176:177], v[224:225], v[108:111]// 000000008694: D3F3006C 0DB3C1B0
	buffer_load_dwordx4 a[88:91], v39, s[24:27], 0 offen offset:2048// 00000000869C: E05C1800 80865827
	v_mfma_f32_16x16x32_fp8_fp8 v[108:111], a[178:179], v[226:227], v[108:111]// 0000000086A4: D3F3006C 0DB3C5B2
	v_mfma_f32_16x16x32_fp8_fp8 v[108:111], a[180:181], v[228:229], v[108:111]// 0000000086AC: D3F3006C 0DB3C9B4
	v_mfma_f32_16x16x32_fp8_fp8 v[108:111], a[182:183], v[230:231], v[108:111]// 0000000086B4: D3F3006C 0DB3CDB6
	v_mfma_f32_16x16x32_fp8_fp8 v[108:111], a[184:185], v[232:233], v[108:111]// 0000000086BC: D3F3006C 0DB3D1B8
	buffer_load_dwordx4 a[92:95], v39, s[24:27], 0 offen offset:3072// 0000000086C4: E05C1C00 80865C27
	v_mfma_f32_16x16x32_fp8_fp8 v[108:111], a[186:187], v[234:235], v[108:111]// 0000000086CC: D3F3006C 0DB3D5BA
	v_mfma_f32_16x16x32_fp8_fp8 v[108:111], a[188:189], v[236:237], v[108:111]// 0000000086D4: D3F3006C 0DB3D9BC
	v_mfma_f32_16x16x32_fp8_fp8 v[108:111], a[190:191], v[238:239], v[108:111]// 0000000086DC: D3F3006C 0DB3DDBE
	s_add_u32 s60, 0x200, s80                                  // 0000000086E4: 803C50FF 00000200
	s_cmp_lt_u32 s60, s81                                      // 0000000086EC: BF0A513C
	s_cselect_b32 s57, s57, 0                                  // 0000000086F0: 85398039
	s_add_u32 s60, 0x200, s80                                  // 0000000086F4: 803C50FF 00000200
	s_cmp_lt_u32 s60, s81                                      // 0000000086FC: BF0A513C
	s_cselect_b32 s58, s58, 0                                  // 000000008700: 853A803A
	s_add_u32 s20, s57, s20                                    // 000000008704: 80141439
	s_addc_u32 s21, 0, s21                                     // 000000008708: 82151580
	s_add_u32 s24, s58, s24                                    // 00000000870C: 8018183A
	s_addc_u32 s25, 0, s25                                     // 000000008710: 82191980
	s_add_u32 s92, s90, s92                                    // 000000008714: 805C5C5A
	s_addc_u32 s93, 0, s93                                     // 000000008718: 825D5D80
	s_addk_i32 s80, 0x100                                      // 00000000871C: B7500100
	s_cmp_lt_i32 s80, s81                                      // 000000008720: BF045150
	s_cbranch_scc0 label_164B                                  // 000000008724: BF840001
	s_branch label_11F2                                        // 000000008728: BF82FBA7

000000000000872c <label_164B>:
	s_mov_b32 s20, 0                                           // 00000000872C: BE940080
	s_cmp_lt_u32 s89, s66                                      // 000000008730: BF0A4259
	s_cselect_b32 s60, 0, 1                                    // 000000008734: 853C8180
	s_lshl1_add_u32 s20, s20, s60                              // 000000008738: 97143C14
	s_cmp_lt_u32 s88, s66                                      // 00000000873C: BF0A4258
	s_cselect_b32 s60, 0, 1                                    // 000000008740: 853C8180
	s_lshl1_add_u32 s20, s20, s60                              // 000000008744: 97143C14
	s_cmp_lt_u32 s87, s66                                      // 000000008748: BF0A4257
	s_cselect_b32 s60, 0, 1                                    // 00000000874C: 853C8180
	s_lshl1_add_u32 s20, s20, s60                              // 000000008750: 97143C14
	s_cmp_lt_u32 s86, s66                                      // 000000008754: BF0A4256
	s_cselect_b32 s60, 0, 1                                    // 000000008758: 853C8180
	s_lshl1_add_u32 s20, s20, s60                              // 00000000875C: 97143C14
	s_cmp_lt_u32 s85, s66                                      // 000000008760: BF0A4255
	s_cselect_b32 s60, 0, 1                                    // 000000008764: 853C8180
	s_lshl1_add_u32 s20, s20, s60                              // 000000008768: 97143C14
	s_cmp_lt_u32 s84, s66                                      // 00000000876C: BF0A4254
	s_cselect_b32 s60, 0, 1                                    // 000000008770: 853C8180
	s_lshl1_add_u32 s20, s20, s60                              // 000000008774: 97143C14
	s_cmp_lt_u32 s83, s66                                      // 000000008778: BF0A4253
	s_cselect_b32 s60, 0, 1                                    // 00000000877C: 853C8180
	s_lshl1_add_u32 s20, s20, s60                              // 000000008780: 97143C14
	s_cmp_lt_u32 s82, s66                                      // 000000008784: BF0A4252
	s_cselect_b32 s60, 0, 1                                    // 000000008788: 853C8180
	s_lshl1_add_u32 s20, s20, s60                              // 00000000878C: 97143C14
	v_mul_f32_e32 v128, v14, v128                              // 000000008790: 0B01010E
	v_mul_f32_e32 v129, v14, v129                              // 000000008794: 0B03030E
	v_mul_f32_e32 v130, v14, v130                              // 000000008798: 0B05050E
	v_mul_f32_e32 v131, v14, v131                              // 00000000879C: 0B07070E
	v_mul_f32_dpp v128, v16, v128 row_newbcast:0 row_mask:0xf bank_mask:0xf// 0000000087A0: 0B0100FA FF015010
	v_mul_f32_dpp v129, v16, v129 row_newbcast:1 row_mask:0xf bank_mask:0xf// 0000000087A8: 0B0302FA FF015110
	v_mul_f32_dpp v130, v16, v130 row_newbcast:2 row_mask:0xf bank_mask:0xf// 0000000087B0: 0B0504FA FF015210
	v_mul_f32_dpp v131, v16, v131 row_newbcast:3 row_mask:0xf bank_mask:0xf// 0000000087B8: 0B0706FA FF015310
	v_mul_f32_e32 v132, v15, v132                              // 0000000087C0: 0B09090F
	v_mul_f32_e32 v133, v15, v133                              // 0000000087C4: 0B0B0B0F
	v_mul_f32_e32 v134, v15, v134                              // 0000000087C8: 0B0D0D0F
	v_mul_f32_e32 v135, v15, v135                              // 0000000087CC: 0B0F0F0F
	v_mul_f32_dpp v132, v16, v132 row_newbcast:0 row_mask:0xf bank_mask:0xf// 0000000087D0: 0B0908FA FF015010
	v_mul_f32_dpp v133, v16, v133 row_newbcast:1 row_mask:0xf bank_mask:0xf// 0000000087D8: 0B0B0AFA FF015110
	v_mul_f32_dpp v134, v16, v134 row_newbcast:2 row_mask:0xf bank_mask:0xf// 0000000087E0: 0B0D0CFA FF015210
	v_mul_f32_dpp v135, v16, v135 row_newbcast:3 row_mask:0xf bank_mask:0xf// 0000000087E8: 0B0F0EFA FF015310
	v_mul_f32_e32 v136, v14, v136                              // 0000000087F0: 0B11110E
	v_mul_f32_e32 v137, v14, v137                              // 0000000087F4: 0B13130E
	v_mul_f32_e32 v138, v14, v138                              // 0000000087F8: 0B15150E
	v_mul_f32_e32 v139, v14, v139                              // 0000000087FC: 0B17170E
	v_mul_f32_dpp v136, v16, v136 row_newbcast:4 row_mask:0xf bank_mask:0xf// 000000008800: 0B1110FA FF015410
	v_mul_f32_dpp v137, v16, v137 row_newbcast:5 row_mask:0xf bank_mask:0xf// 000000008808: 0B1312FA FF015510
	v_mul_f32_dpp v138, v16, v138 row_newbcast:6 row_mask:0xf bank_mask:0xf// 000000008810: 0B1514FA FF015610
	v_mul_f32_dpp v139, v16, v139 row_newbcast:7 row_mask:0xf bank_mask:0xf// 000000008818: 0B1716FA FF015710
	v_mul_f32_e32 v140, v15, v140                              // 000000008820: 0B19190F
	v_mul_f32_e32 v141, v15, v141                              // 000000008824: 0B1B1B0F
	v_mul_f32_e32 v142, v15, v142                              // 000000008828: 0B1D1D0F
	v_mul_f32_e32 v143, v15, v143                              // 00000000882C: 0B1F1F0F
	v_mul_f32_dpp v140, v16, v140 row_newbcast:4 row_mask:0xf bank_mask:0xf// 000000008830: 0B1918FA FF015410
	v_mul_f32_dpp v141, v16, v141 row_newbcast:5 row_mask:0xf bank_mask:0xf// 000000008838: 0B1B1AFA FF015510
	v_mul_f32_dpp v142, v16, v142 row_newbcast:6 row_mask:0xf bank_mask:0xf// 000000008840: 0B1D1CFA FF015610
	v_mul_f32_dpp v143, v16, v143 row_newbcast:7 row_mask:0xf bank_mask:0xf// 000000008848: 0B1F1EFA FF015710
	v_mul_f32_e32 v144, v14, v144                              // 000000008850: 0B21210E
	v_mul_f32_e32 v145, v14, v145                              // 000000008854: 0B23230E
	v_mul_f32_e32 v146, v14, v146                              // 000000008858: 0B25250E
	v_mul_f32_e32 v147, v14, v147                              // 00000000885C: 0B27270E
	v_mul_f32_dpp v144, v16, v144 row_newbcast:8 row_mask:0xf bank_mask:0xf// 000000008860: 0B2120FA FF015810
	v_mul_f32_dpp v145, v16, v145 row_newbcast:9 row_mask:0xf bank_mask:0xf// 000000008868: 0B2322FA FF015910
	v_mul_f32_dpp v146, v16, v146 row_newbcast:10 row_mask:0xf bank_mask:0xf// 000000008870: 0B2524FA FF015A10
	v_mul_f32_dpp v147, v16, v147 row_newbcast:11 row_mask:0xf bank_mask:0xf// 000000008878: 0B2726FA FF015B10
	v_mul_f32_e32 v148, v15, v148                              // 000000008880: 0B29290F
	v_mul_f32_e32 v149, v15, v149                              // 000000008884: 0B2B2B0F
	v_mul_f32_e32 v150, v15, v150                              // 000000008888: 0B2D2D0F
	v_mul_f32_e32 v151, v15, v151                              // 00000000888C: 0B2F2F0F
	v_mul_f32_dpp v148, v16, v148 row_newbcast:8 row_mask:0xf bank_mask:0xf// 000000008890: 0B2928FA FF015810
	v_mul_f32_dpp v149, v16, v149 row_newbcast:9 row_mask:0xf bank_mask:0xf// 000000008898: 0B2B2AFA FF015910
	v_mul_f32_dpp v150, v16, v150 row_newbcast:10 row_mask:0xf bank_mask:0xf// 0000000088A0: 0B2D2CFA FF015A10
	v_mul_f32_dpp v151, v16, v151 row_newbcast:11 row_mask:0xf bank_mask:0xf// 0000000088A8: 0B2F2EFA FF015B10
	v_mul_f32_e32 v152, v14, v152                              // 0000000088B0: 0B31310E
	v_mul_f32_e32 v153, v14, v153                              // 0000000088B4: 0B33330E
	v_mul_f32_e32 v154, v14, v154                              // 0000000088B8: 0B35350E
	v_mul_f32_e32 v155, v14, v155                              // 0000000088BC: 0B37370E
	v_mul_f32_dpp v152, v16, v152 row_newbcast:12 row_mask:0xf bank_mask:0xf// 0000000088C0: 0B3130FA FF015C10
	v_mul_f32_dpp v153, v16, v153 row_newbcast:13 row_mask:0xf bank_mask:0xf// 0000000088C8: 0B3332FA FF015D10
	v_mul_f32_dpp v154, v16, v154 row_newbcast:14 row_mask:0xf bank_mask:0xf// 0000000088D0: 0B3534FA FF015E10
	v_mul_f32_dpp v155, v16, v155 row_newbcast:15 row_mask:0xf bank_mask:0xf// 0000000088D8: 0B3736FA FF015F10
	v_mul_f32_e32 v156, v15, v156                              // 0000000088E0: 0B39390F
	v_mul_f32_e32 v157, v15, v157                              // 0000000088E4: 0B3B3B0F
	v_mul_f32_e32 v158, v15, v158                              // 0000000088E8: 0B3D3D0F
	v_mul_f32_e32 v159, v15, v159                              // 0000000088EC: 0B3F3F0F
	v_mul_f32_dpp v156, v16, v156 row_newbcast:12 row_mask:0xf bank_mask:0xf// 0000000088F0: 0B3938FA FF015C10
	v_mul_f32_dpp v157, v16, v157 row_newbcast:13 row_mask:0xf bank_mask:0xf// 0000000088F8: 0B3B3AFA FF015D10
	v_mul_f32_dpp v158, v16, v158 row_newbcast:14 row_mask:0xf bank_mask:0xf// 000000008900: 0B3D3CFA FF015E10
	v_mul_f32_dpp v159, v16, v159 row_newbcast:15 row_mask:0xf bank_mask:0xf// 000000008908: 0B3F3EFA FF015F10
	v_mul_f32_e32 v160, v14, v160                              // 000000008910: 0B41410E
	v_mul_f32_e32 v161, v14, v161                              // 000000008914: 0B43430E
	v_mul_f32_e32 v162, v14, v162                              // 000000008918: 0B45450E
	v_mul_f32_e32 v163, v14, v163                              // 00000000891C: 0B47470E
	v_mul_f32_dpp v160, v17, v160 row_newbcast:0 row_mask:0xf bank_mask:0xf// 000000008920: 0B4140FA FF015011
	v_mul_f32_dpp v161, v17, v161 row_newbcast:1 row_mask:0xf bank_mask:0xf// 000000008928: 0B4342FA FF015111
	v_mul_f32_dpp v162, v17, v162 row_newbcast:2 row_mask:0xf bank_mask:0xf// 000000008930: 0B4544FA FF015211
	v_mul_f32_dpp v163, v17, v163 row_newbcast:3 row_mask:0xf bank_mask:0xf// 000000008938: 0B4746FA FF015311
	v_mul_f32_e32 v164, v15, v164                              // 000000008940: 0B49490F
	v_mul_f32_e32 v165, v15, v165                              // 000000008944: 0B4B4B0F
	v_mul_f32_e32 v166, v15, v166                              // 000000008948: 0B4D4D0F
	v_mul_f32_e32 v167, v15, v167                              // 00000000894C: 0B4F4F0F
	v_mul_f32_dpp v164, v17, v164 row_newbcast:0 row_mask:0xf bank_mask:0xf// 000000008950: 0B4948FA FF015011
	v_mul_f32_dpp v165, v17, v165 row_newbcast:1 row_mask:0xf bank_mask:0xf// 000000008958: 0B4B4AFA FF015111
	v_mul_f32_dpp v166, v17, v166 row_newbcast:2 row_mask:0xf bank_mask:0xf// 000000008960: 0B4D4CFA FF015211
	v_mul_f32_dpp v167, v17, v167 row_newbcast:3 row_mask:0xf bank_mask:0xf// 000000008968: 0B4F4EFA FF015311
	v_mul_f32_e32 v168, v14, v168                              // 000000008970: 0B51510E
	v_mul_f32_e32 v169, v14, v169                              // 000000008974: 0B53530E
	v_mul_f32_e32 v170, v14, v170                              // 000000008978: 0B55550E
	v_mul_f32_e32 v171, v14, v171                              // 00000000897C: 0B57570E
	v_mul_f32_dpp v168, v17, v168 row_newbcast:4 row_mask:0xf bank_mask:0xf// 000000008980: 0B5150FA FF015411
	v_mul_f32_dpp v169, v17, v169 row_newbcast:5 row_mask:0xf bank_mask:0xf// 000000008988: 0B5352FA FF015511
	v_mul_f32_dpp v170, v17, v170 row_newbcast:6 row_mask:0xf bank_mask:0xf// 000000008990: 0B5554FA FF015611
	v_mul_f32_dpp v171, v17, v171 row_newbcast:7 row_mask:0xf bank_mask:0xf// 000000008998: 0B5756FA FF015711
	v_mul_f32_e32 v172, v15, v172                              // 0000000089A0: 0B59590F
	v_mul_f32_e32 v173, v15, v173                              // 0000000089A4: 0B5B5B0F
	v_mul_f32_e32 v174, v15, v174                              // 0000000089A8: 0B5D5D0F
	v_mul_f32_e32 v175, v15, v175                              // 0000000089AC: 0B5F5F0F
	v_mul_f32_dpp v172, v17, v172 row_newbcast:4 row_mask:0xf bank_mask:0xf// 0000000089B0: 0B5958FA FF015411
	v_mul_f32_dpp v173, v17, v173 row_newbcast:5 row_mask:0xf bank_mask:0xf// 0000000089B8: 0B5B5AFA FF015511
	v_mul_f32_dpp v174, v17, v174 row_newbcast:6 row_mask:0xf bank_mask:0xf// 0000000089C0: 0B5D5CFA FF015611
	v_mul_f32_dpp v175, v17, v175 row_newbcast:7 row_mask:0xf bank_mask:0xf// 0000000089C8: 0B5F5EFA FF015711
	v_mul_f32_e32 v64, v14, v64                                // 0000000089D0: 0A80810E
	v_mul_f32_e32 v65, v14, v65                                // 0000000089D4: 0A82830E
	v_mul_f32_e32 v66, v14, v66                                // 0000000089D8: 0A84850E
	v_mul_f32_e32 v67, v14, v67                                // 0000000089DC: 0A86870E
	v_mul_f32_dpp v64, v48, v64 row_newbcast:0 row_mask:0xf bank_mask:0xf// 0000000089E0: 0A8080FA FF015030
	v_mul_f32_dpp v65, v48, v65 row_newbcast:1 row_mask:0xf bank_mask:0xf// 0000000089E8: 0A8282FA FF015130
	v_mul_f32_dpp v66, v48, v66 row_newbcast:2 row_mask:0xf bank_mask:0xf// 0000000089F0: 0A8484FA FF015230
	v_mul_f32_dpp v67, v48, v67 row_newbcast:3 row_mask:0xf bank_mask:0xf// 0000000089F8: 0A8686FA FF015330
	v_mul_f32_e32 v68, v15, v68                                // 000000008A00: 0A88890F
	v_mul_f32_e32 v69, v15, v69                                // 000000008A04: 0A8A8B0F
	v_mul_f32_e32 v70, v15, v70                                // 000000008A08: 0A8C8D0F
	v_mul_f32_e32 v71, v15, v71                                // 000000008A0C: 0A8E8F0F
	v_mul_f32_dpp v68, v48, v68 row_newbcast:0 row_mask:0xf bank_mask:0xf// 000000008A10: 0A8888FA FF015030
	v_mul_f32_dpp v69, v48, v69 row_newbcast:1 row_mask:0xf bank_mask:0xf// 000000008A18: 0A8A8AFA FF015130
	v_mul_f32_dpp v70, v48, v70 row_newbcast:2 row_mask:0xf bank_mask:0xf// 000000008A20: 0A8C8CFA FF015230
	v_mul_f32_dpp v71, v48, v71 row_newbcast:3 row_mask:0xf bank_mask:0xf// 000000008A28: 0A8E8EFA FF015330
	v_mul_f32_e32 v72, v14, v72                                // 000000008A30: 0A90910E
	v_mul_f32_e32 v73, v14, v73                                // 000000008A34: 0A92930E
	v_mul_f32_e32 v74, v14, v74                                // 000000008A38: 0A94950E
	v_mul_f32_e32 v75, v14, v75                                // 000000008A3C: 0A96970E
	v_mul_f32_dpp v72, v48, v72 row_newbcast:4 row_mask:0xf bank_mask:0xf// 000000008A40: 0A9090FA FF015430
	v_mul_f32_dpp v73, v48, v73 row_newbcast:5 row_mask:0xf bank_mask:0xf// 000000008A48: 0A9292FA FF015530
	v_mul_f32_dpp v74, v48, v74 row_newbcast:6 row_mask:0xf bank_mask:0xf// 000000008A50: 0A9494FA FF015630
	v_mul_f32_dpp v75, v48, v75 row_newbcast:7 row_mask:0xf bank_mask:0xf// 000000008A58: 0A9696FA FF015730
	v_mul_f32_e32 v76, v15, v76                                // 000000008A60: 0A98990F
	v_mul_f32_e32 v77, v15, v77                                // 000000008A64: 0A9A9B0F
	v_mul_f32_e32 v78, v15, v78                                // 000000008A68: 0A9C9D0F
	v_mul_f32_e32 v79, v15, v79                                // 000000008A6C: 0A9E9F0F
	v_mul_f32_dpp v76, v48, v76 row_newbcast:4 row_mask:0xf bank_mask:0xf// 000000008A70: 0A9898FA FF015430
	v_mul_f32_dpp v77, v48, v77 row_newbcast:5 row_mask:0xf bank_mask:0xf// 000000008A78: 0A9A9AFA FF015530
	v_mul_f32_dpp v78, v48, v78 row_newbcast:6 row_mask:0xf bank_mask:0xf// 000000008A80: 0A9C9CFA FF015630
	v_mul_f32_dpp v79, v48, v79 row_newbcast:7 row_mask:0xf bank_mask:0xf// 000000008A88: 0A9E9EFA FF015730
	v_mul_f32_e32 v80, v14, v80                                // 000000008A90: 0AA0A10E
	v_mul_f32_e32 v81, v14, v81                                // 000000008A94: 0AA2A30E
	v_mul_f32_e32 v82, v14, v82                                // 000000008A98: 0AA4A50E
	v_mul_f32_e32 v83, v14, v83                                // 000000008A9C: 0AA6A70E
	v_mul_f32_dpp v80, v48, v80 row_newbcast:8 row_mask:0xf bank_mask:0xf// 000000008AA0: 0AA0A0FA FF015830
	v_mul_f32_dpp v81, v48, v81 row_newbcast:9 row_mask:0xf bank_mask:0xf// 000000008AA8: 0AA2A2FA FF015930
	v_mul_f32_dpp v82, v48, v82 row_newbcast:10 row_mask:0xf bank_mask:0xf// 000000008AB0: 0AA4A4FA FF015A30
	v_mul_f32_dpp v83, v48, v83 row_newbcast:11 row_mask:0xf bank_mask:0xf// 000000008AB8: 0AA6A6FA FF015B30
	v_mul_f32_e32 v84, v15, v84                                // 000000008AC0: 0AA8A90F
	v_mul_f32_e32 v85, v15, v85                                // 000000008AC4: 0AAAAB0F
	v_mul_f32_e32 v86, v15, v86                                // 000000008AC8: 0AACAD0F
	v_mul_f32_e32 v87, v15, v87                                // 000000008ACC: 0AAEAF0F
	v_mul_f32_dpp v84, v48, v84 row_newbcast:8 row_mask:0xf bank_mask:0xf// 000000008AD0: 0AA8A8FA FF015830
	v_mul_f32_dpp v85, v48, v85 row_newbcast:9 row_mask:0xf bank_mask:0xf// 000000008AD8: 0AAAAAFA FF015930
	v_mul_f32_dpp v86, v48, v86 row_newbcast:10 row_mask:0xf bank_mask:0xf// 000000008AE0: 0AACACFA FF015A30
	v_mul_f32_dpp v87, v48, v87 row_newbcast:11 row_mask:0xf bank_mask:0xf// 000000008AE8: 0AAEAEFA FF015B30
	v_mul_f32_e32 v88, v14, v88                                // 000000008AF0: 0AB0B10E
	v_mul_f32_e32 v89, v14, v89                                // 000000008AF4: 0AB2B30E
	v_mul_f32_e32 v90, v14, v90                                // 000000008AF8: 0AB4B50E
	v_mul_f32_e32 v91, v14, v91                                // 000000008AFC: 0AB6B70E
	v_mul_f32_dpp v88, v48, v88 row_newbcast:12 row_mask:0xf bank_mask:0xf// 000000008B00: 0AB0B0FA FF015C30
	v_mul_f32_dpp v89, v48, v89 row_newbcast:13 row_mask:0xf bank_mask:0xf// 000000008B08: 0AB2B2FA FF015D30
	v_mul_f32_dpp v90, v48, v90 row_newbcast:14 row_mask:0xf bank_mask:0xf// 000000008B10: 0AB4B4FA FF015E30
	v_mul_f32_dpp v91, v48, v91 row_newbcast:15 row_mask:0xf bank_mask:0xf// 000000008B18: 0AB6B6FA FF015F30
	v_mul_f32_e32 v92, v15, v92                                // 000000008B20: 0AB8B90F
	v_mul_f32_e32 v93, v15, v93                                // 000000008B24: 0ABABB0F
	v_mul_f32_e32 v94, v15, v94                                // 000000008B28: 0ABCBD0F
	v_mul_f32_e32 v95, v15, v95                                // 000000008B2C: 0ABEBF0F
	v_mul_f32_dpp v92, v48, v92 row_newbcast:12 row_mask:0xf bank_mask:0xf// 000000008B30: 0AB8B8FA FF015C30
	v_mul_f32_dpp v93, v48, v93 row_newbcast:13 row_mask:0xf bank_mask:0xf// 000000008B38: 0ABABAFA FF015D30
	v_mul_f32_dpp v94, v48, v94 row_newbcast:14 row_mask:0xf bank_mask:0xf// 000000008B40: 0ABCBCFA FF015E30
	v_mul_f32_dpp v95, v48, v95 row_newbcast:15 row_mask:0xf bank_mask:0xf// 000000008B48: 0ABEBEFA FF015F30
	v_mul_f32_e32 v96, v14, v96                                // 000000008B50: 0AC0C10E
	v_mul_f32_e32 v97, v14, v97                                // 000000008B54: 0AC2C30E
	v_mul_f32_e32 v98, v14, v98                                // 000000008B58: 0AC4C50E
	v_mul_f32_e32 v99, v14, v99                                // 000000008B5C: 0AC6C70E
	v_mul_f32_dpp v96, v49, v96 row_newbcast:0 row_mask:0xf bank_mask:0xf// 000000008B60: 0AC0C0FA FF015031
	v_mul_f32_dpp v97, v49, v97 row_newbcast:1 row_mask:0xf bank_mask:0xf// 000000008B68: 0AC2C2FA FF015131
	v_mul_f32_dpp v98, v49, v98 row_newbcast:2 row_mask:0xf bank_mask:0xf// 000000008B70: 0AC4C4FA FF015231
	v_mul_f32_dpp v99, v49, v99 row_newbcast:3 row_mask:0xf bank_mask:0xf// 000000008B78: 0AC6C6FA FF015331
	v_mul_f32_e32 v100, v15, v100                              // 000000008B80: 0AC8C90F
	v_mul_f32_e32 v101, v15, v101                              // 000000008B84: 0ACACB0F
	v_mul_f32_e32 v102, v15, v102                              // 000000008B88: 0ACCCD0F
	v_mul_f32_e32 v103, v15, v103                              // 000000008B8C: 0ACECF0F
	v_mul_f32_dpp v100, v49, v100 row_newbcast:0 row_mask:0xf bank_mask:0xf// 000000008B90: 0AC8C8FA FF015031
	v_mul_f32_dpp v101, v49, v101 row_newbcast:1 row_mask:0xf bank_mask:0xf// 000000008B98: 0ACACAFA FF015131
	v_mul_f32_dpp v102, v49, v102 row_newbcast:2 row_mask:0xf bank_mask:0xf// 000000008BA0: 0ACCCCFA FF015231
	v_mul_f32_dpp v103, v49, v103 row_newbcast:3 row_mask:0xf bank_mask:0xf// 000000008BA8: 0ACECEFA FF015331
	v_mul_f32_e32 v104, v14, v104                              // 000000008BB0: 0AD0D10E
	v_mul_f32_e32 v105, v14, v105                              // 000000008BB4: 0AD2D30E
	v_mul_f32_e32 v106, v14, v106                              // 000000008BB8: 0AD4D50E
	v_mul_f32_e32 v107, v14, v107                              // 000000008BBC: 0AD6D70E
	v_mul_f32_dpp v104, v49, v104 row_newbcast:4 row_mask:0xf bank_mask:0xf// 000000008BC0: 0AD0D0FA FF015431
	v_mul_f32_dpp v105, v49, v105 row_newbcast:5 row_mask:0xf bank_mask:0xf// 000000008BC8: 0AD2D2FA FF015531
	v_mul_f32_dpp v106, v49, v106 row_newbcast:6 row_mask:0xf bank_mask:0xf// 000000008BD0: 0AD4D4FA FF015631
	v_mul_f32_dpp v107, v49, v107 row_newbcast:7 row_mask:0xf bank_mask:0xf// 000000008BD8: 0AD6D6FA FF015731
	v_mul_f32_e32 v108, v15, v108                              // 000000008BE0: 0AD8D90F
	v_mul_f32_e32 v109, v15, v109                              // 000000008BE4: 0ADADB0F
	v_mul_f32_e32 v110, v15, v110                              // 000000008BE8: 0ADCDD0F
	v_mul_f32_e32 v111, v15, v111                              // 000000008BEC: 0ADEDF0F
	v_mul_f32_dpp v108, v49, v108 row_newbcast:4 row_mask:0xf bank_mask:0xf// 000000008BF0: 0AD8D8FA FF015431
	v_mul_f32_dpp v109, v49, v109 row_newbcast:5 row_mask:0xf bank_mask:0xf// 000000008BF8: 0ADADAFA FF015531
	v_mul_f32_dpp v110, v49, v110 row_newbcast:6 row_mask:0xf bank_mask:0xf// 000000008C00: 0ADCDCFA FF015631
	v_mul_f32_dpp v111, v49, v111 row_newbcast:7 row_mask:0xf bank_mask:0xf// 000000008C08: 0ADEDEFA FF015731
	s_waitcnt vmcnt(20)                                        // 000000008C10: BF8C4F74
	buffer_load_dwordx4 a[0:3], v40, s[12:15], 0 offen         // 000000008C14: E05C1000 80830028
	v_mul_f32_e32 v50, v128, v128                              // 000000008C1C: 0A650180
	v_mul_f32_e32 v51, v129, v129                              // 000000008C20: 0A670381
	v_mul_f32_e32 v52, v130, v130                              // 000000008C24: 0A690582
	v_mul_f32_e32 v53, v131, v131                              // 000000008C28: 0A6B0783
	v_fma_f32 v50, v50, s77, v1                                // 000000008C2C: D1CB0032 04049B32
	v_fma_f32 v51, v51, s77, v1                                // 000000008C34: D1CB0033 04049B33
	v_fma_f32 v52, v52, s77, v1                                // 000000008C3C: D1CB0034 04049B34
	v_fma_f32 v53, v53, s77, v1                                // 000000008C44: D1CB0035 04049B35
	v_mul_f32_e32 v50, v50, v128                               // 000000008C4C: 0A650132
	v_mul_f32_e32 v51, v51, v129                               // 000000008C50: 0A670333
	v_mul_f32_e32 v52, v52, v130                               // 000000008C54: 0A690534
	v_mul_f32_e32 v53, v53, v131                               // 000000008C58: 0A6B0735
	v_mul_f32_e64 v50, v50, s6                                 // 000000008C5C: D1050032 00000D32
	v_mul_f32_e64 v51, v51, s6                                 // 000000008C64: D1050033 00000D33
	v_mul_f32_e64 v52, v52, s6                                 // 000000008C6C: D1050034 00000D34
	v_mul_f32_e64 v53, v53, s6                                 // 000000008C74: D1050035 00000D35
	v_exp_f32_e32 v50, v50                                     // 000000008C7C: 7E644132
	v_exp_f32_e32 v51, v51                                     // 000000008C80: 7E664133
	v_exp_f32_e32 v52, v52                                     // 000000008C84: 7E684134
	v_exp_f32_e32 v53, v53                                     // 000000008C88: 7E6A4135
	buffer_load_dwordx4 a[4:7], v41, s[12:15], 0 offen         // 000000008C8C: E05C1000 80830429
	v_add_f32_e64 v50, v50, 1.0                                // 000000008C94: D1010032 0001E532
	v_add_f32_e64 v51, v51, 1.0                                // 000000008C9C: D1010033 0001E533
	v_add_f32_e64 v52, v52, 1.0                                // 000000008CA4: D1010034 0001E534
	v_add_f32_e64 v53, v53, 1.0                                // 000000008CAC: D1010035 0001E535
	v_rcp_f32_e32 v50, v50                                     // 000000008CB4: 7E644532
	v_rcp_f32_e32 v51, v51                                     // 000000008CB8: 7E664533
	v_rcp_f32_e32 v52, v52                                     // 000000008CBC: 7E684534
	v_rcp_f32_e32 v53, v53                                     // 000000008CC0: 7E6A4535
	v_mul_f32_e32 v128, v128, v50                              // 000000008CC4: 0B006580
	v_mul_f32_e32 v129, v129, v51                              // 000000008CC8: 0B026781
	v_mul_f32_e32 v130, v130, v52                              // 000000008CCC: 0B046982
	v_mul_f32_e32 v131, v131, v53                              // 000000008CD0: 0B066B83
	v_mul_f32_e32 v128, v128, v64                              // 000000008CD4: 0B008180
	v_mul_f32_e32 v129, v129, v65                              // 000000008CD8: 0B028381
	v_mul_f32_e32 v130, v130, v66                              // 000000008CDC: 0B048582
	v_mul_f32_e32 v131, v131, v67                              // 000000008CE0: 0B068783
	buffer_load_dwordx4 a[8:11], v42, s[12:15], 0 offen        // 000000008CE4: E05C1000 8083082A
	v_mul_f32_e32 v50, v132, v132                              // 000000008CEC: 0A650984
	v_mul_f32_e32 v51, v133, v133                              // 000000008CF0: 0A670B85
	v_mul_f32_e32 v52, v134, v134                              // 000000008CF4: 0A690D86
	v_mul_f32_e32 v53, v135, v135                              // 000000008CF8: 0A6B0F87
	v_fma_f32 v50, v50, s77, v1                                // 000000008CFC: D1CB0032 04049B32
	v_fma_f32 v51, v51, s77, v1                                // 000000008D04: D1CB0033 04049B33
	v_fma_f32 v52, v52, s77, v1                                // 000000008D0C: D1CB0034 04049B34
	v_fma_f32 v53, v53, s77, v1                                // 000000008D14: D1CB0035 04049B35
	v_mul_f32_e32 v50, v50, v132                               // 000000008D1C: 0A650932
	v_mul_f32_e32 v51, v51, v133                               // 000000008D20: 0A670B33
	v_mul_f32_e32 v52, v52, v134                               // 000000008D24: 0A690D34
	v_mul_f32_e32 v53, v53, v135                               // 000000008D28: 0A6B0F35
	v_mul_f32_e64 v50, v50, s6                                 // 000000008D2C: D1050032 00000D32
	v_mul_f32_e64 v51, v51, s6                                 // 000000008D34: D1050033 00000D33
	v_mul_f32_e64 v52, v52, s6                                 // 000000008D3C: D1050034 00000D34
	v_mul_f32_e64 v53, v53, s6                                 // 000000008D44: D1050035 00000D35
	v_exp_f32_e32 v50, v50                                     // 000000008D4C: 7E644132
	v_exp_f32_e32 v51, v51                                     // 000000008D50: 7E664133
	v_exp_f32_e32 v52, v52                                     // 000000008D54: 7E684134
	v_exp_f32_e32 v53, v53                                     // 000000008D58: 7E6A4135
	buffer_load_dwordx4 a[12:15], v43, s[12:15], 0 offen       // 000000008D5C: E05C1000 80830C2B
	s_add_u32 s12, s78, s12                                    // 000000008D64: 800C0C4E
	s_addc_u32 s13, 0, s13                                     // 000000008D68: 820D0D80
	v_add_f32_e64 v50, v50, 1.0                                // 000000008D6C: D1010032 0001E532
	v_add_f32_e64 v51, v51, 1.0                                // 000000008D74: D1010033 0001E533
	v_add_f32_e64 v52, v52, 1.0                                // 000000008D7C: D1010034 0001E534
	v_add_f32_e64 v53, v53, 1.0                                // 000000008D84: D1010035 0001E535
	v_rcp_f32_e32 v50, v50                                     // 000000008D8C: 7E644532
	v_rcp_f32_e32 v51, v51                                     // 000000008D90: 7E664533
	v_rcp_f32_e32 v52, v52                                     // 000000008D94: 7E684534
	v_rcp_f32_e32 v53, v53                                     // 000000008D98: 7E6A4535
	v_mul_f32_e32 v132, v132, v50                              // 000000008D9C: 0B086584
	v_mul_f32_e32 v133, v133, v51                              // 000000008DA0: 0B0A6785
	v_mul_f32_e32 v134, v134, v52                              // 000000008DA4: 0B0C6986
	v_mul_f32_e32 v135, v135, v53                              // 000000008DA8: 0B0E6B87
	v_mul_f32_e32 v132, v132, v68                              // 000000008DAC: 0B088984
	v_mul_f32_e32 v133, v133, v69                              // 000000008DB0: 0B0A8B85
	v_mul_f32_e32 v134, v134, v70                              // 000000008DB4: 0B0C8D86
	v_mul_f32_e32 v135, v135, v71                              // 000000008DB8: 0B0E8F87
	s_waitcnt vmcnt(20)                                        // 000000008DBC: BF8C4F74
	buffer_load_dwordx4 a[16:19], v40, s[12:15], 0 offen       // 000000008DC0: E05C1000 80831028
	v_mul_f32_e32 v50, v136, v136                              // 000000008DC8: 0A651188
	v_mul_f32_e32 v51, v137, v137                              // 000000008DCC: 0A671389
	v_mul_f32_e32 v52, v138, v138                              // 000000008DD0: 0A69158A
	v_mul_f32_e32 v53, v139, v139                              // 000000008DD4: 0A6B178B
	v_fma_f32 v50, v50, s77, v1                                // 000000008DD8: D1CB0032 04049B32
	v_fma_f32 v51, v51, s77, v1                                // 000000008DE0: D1CB0033 04049B33
	v_fma_f32 v52, v52, s77, v1                                // 000000008DE8: D1CB0034 04049B34
	v_fma_f32 v53, v53, s77, v1                                // 000000008DF0: D1CB0035 04049B35
	v_mul_f32_e32 v50, v50, v136                               // 000000008DF8: 0A651132
	v_mul_f32_e32 v51, v51, v137                               // 000000008DFC: 0A671333
	v_mul_f32_e32 v52, v52, v138                               // 000000008E00: 0A691534
	v_mul_f32_e32 v53, v53, v139                               // 000000008E04: 0A6B1735
	v_mul_f32_e64 v50, v50, s6                                 // 000000008E08: D1050032 00000D32
	v_mul_f32_e64 v51, v51, s6                                 // 000000008E10: D1050033 00000D33
	v_mul_f32_e64 v52, v52, s6                                 // 000000008E18: D1050034 00000D34
	v_mul_f32_e64 v53, v53, s6                                 // 000000008E20: D1050035 00000D35
	v_exp_f32_e32 v50, v50                                     // 000000008E28: 7E644132
	v_exp_f32_e32 v51, v51                                     // 000000008E2C: 7E664133
	v_exp_f32_e32 v52, v52                                     // 000000008E30: 7E684134
	v_exp_f32_e32 v53, v53                                     // 000000008E34: 7E6A4135
	buffer_load_dwordx4 a[20:23], v41, s[12:15], 0 offen       // 000000008E38: E05C1000 80831429
	v_add_f32_e64 v50, v50, 1.0                                // 000000008E40: D1010032 0001E532
	v_add_f32_e64 v51, v51, 1.0                                // 000000008E48: D1010033 0001E533
	v_add_f32_e64 v52, v52, 1.0                                // 000000008E50: D1010034 0001E534
	v_add_f32_e64 v53, v53, 1.0                                // 000000008E58: D1010035 0001E535
	v_rcp_f32_e32 v50, v50                                     // 000000008E60: 7E644532
	v_rcp_f32_e32 v51, v51                                     // 000000008E64: 7E664533
	v_rcp_f32_e32 v52, v52                                     // 000000008E68: 7E684534
	v_rcp_f32_e32 v53, v53                                     // 000000008E6C: 7E6A4535
	v_mul_f32_e32 v136, v136, v50                              // 000000008E70: 0B106588
	v_mul_f32_e32 v137, v137, v51                              // 000000008E74: 0B126789
	v_mul_f32_e32 v138, v138, v52                              // 000000008E78: 0B14698A
	v_mul_f32_e32 v139, v139, v53                              // 000000008E7C: 0B166B8B
	v_mul_f32_e32 v136, v136, v72                              // 000000008E80: 0B109188
	v_mul_f32_e32 v137, v137, v73                              // 000000008E84: 0B129389
	v_mul_f32_e32 v138, v138, v74                              // 000000008E88: 0B14958A
	v_mul_f32_e32 v139, v139, v75                              // 000000008E8C: 0B16978B
	buffer_load_dwordx4 a[24:27], v42, s[12:15], 0 offen       // 000000008E90: E05C1000 8083182A
	v_mul_f32_e32 v50, v140, v140                              // 000000008E98: 0A65198C
	v_mul_f32_e32 v51, v141, v141                              // 000000008E9C: 0A671B8D
	v_mul_f32_e32 v52, v142, v142                              // 000000008EA0: 0A691D8E
	v_mul_f32_e32 v53, v143, v143                              // 000000008EA4: 0A6B1F8F
	v_fma_f32 v50, v50, s77, v1                                // 000000008EA8: D1CB0032 04049B32
	v_fma_f32 v51, v51, s77, v1                                // 000000008EB0: D1CB0033 04049B33
	v_fma_f32 v52, v52, s77, v1                                // 000000008EB8: D1CB0034 04049B34
	v_fma_f32 v53, v53, s77, v1                                // 000000008EC0: D1CB0035 04049B35
	v_mul_f32_e32 v50, v50, v140                               // 000000008EC8: 0A651932
	v_mul_f32_e32 v51, v51, v141                               // 000000008ECC: 0A671B33
	v_mul_f32_e32 v52, v52, v142                               // 000000008ED0: 0A691D34
	v_mul_f32_e32 v53, v53, v143                               // 000000008ED4: 0A6B1F35
	v_mul_f32_e64 v50, v50, s6                                 // 000000008ED8: D1050032 00000D32
	v_mul_f32_e64 v51, v51, s6                                 // 000000008EE0: D1050033 00000D33
	v_mul_f32_e64 v52, v52, s6                                 // 000000008EE8: D1050034 00000D34
	v_mul_f32_e64 v53, v53, s6                                 // 000000008EF0: D1050035 00000D35
	v_exp_f32_e32 v50, v50                                     // 000000008EF8: 7E644132
	v_exp_f32_e32 v51, v51                                     // 000000008EFC: 7E664133
	v_exp_f32_e32 v52, v52                                     // 000000008F00: 7E684134
	v_exp_f32_e32 v53, v53                                     // 000000008F04: 7E6A4135
	buffer_load_dwordx4 a[28:31], v43, s[12:15], 0 offen       // 000000008F08: E05C1000 80831C2B
	s_add_u32 s12, s78, s12                                    // 000000008F10: 800C0C4E
	s_addc_u32 s13, 0, s13                                     // 000000008F14: 820D0D80
	v_add_f32_e64 v50, v50, 1.0                                // 000000008F18: D1010032 0001E532
	v_add_f32_e64 v51, v51, 1.0                                // 000000008F20: D1010033 0001E533
	v_add_f32_e64 v52, v52, 1.0                                // 000000008F28: D1010034 0001E534
	v_add_f32_e64 v53, v53, 1.0                                // 000000008F30: D1010035 0001E535
	v_rcp_f32_e32 v50, v50                                     // 000000008F38: 7E644532
	v_rcp_f32_e32 v51, v51                                     // 000000008F3C: 7E664533
	v_rcp_f32_e32 v52, v52                                     // 000000008F40: 7E684534
	v_rcp_f32_e32 v53, v53                                     // 000000008F44: 7E6A4535
	v_mul_f32_e32 v140, v140, v50                              // 000000008F48: 0B18658C
	v_mul_f32_e32 v141, v141, v51                              // 000000008F4C: 0B1A678D
	v_mul_f32_e32 v142, v142, v52                              // 000000008F50: 0B1C698E
	v_mul_f32_e32 v143, v143, v53                              // 000000008F54: 0B1E6B8F
	v_mul_f32_e32 v140, v140, v76                              // 000000008F58: 0B18998C
	v_mul_f32_e32 v141, v141, v77                              // 000000008F5C: 0B1A9B8D
	v_mul_f32_e32 v142, v142, v78                              // 000000008F60: 0B1C9D8E
	v_mul_f32_e32 v143, v143, v79                              // 000000008F64: 0B1E9F8F
	s_waitcnt vmcnt(20)                                        // 000000008F68: BF8C4F74
	buffer_load_dwordx4 a[32:35], v40, s[12:15], 0 offen       // 000000008F6C: E05C1000 80832028
	v_mul_f32_e32 v50, v144, v144                              // 000000008F74: 0A652190
	v_mul_f32_e32 v51, v145, v145                              // 000000008F78: 0A672391
	v_mul_f32_e32 v52, v146, v146                              // 000000008F7C: 0A692592
	v_mul_f32_e32 v53, v147, v147                              // 000000008F80: 0A6B2793
	v_fma_f32 v50, v50, s77, v1                                // 000000008F84: D1CB0032 04049B32
	v_fma_f32 v51, v51, s77, v1                                // 000000008F8C: D1CB0033 04049B33
	v_fma_f32 v52, v52, s77, v1                                // 000000008F94: D1CB0034 04049B34
	v_fma_f32 v53, v53, s77, v1                                // 000000008F9C: D1CB0035 04049B35
	v_mul_f32_e32 v50, v50, v144                               // 000000008FA4: 0A652132
	v_mul_f32_e32 v51, v51, v145                               // 000000008FA8: 0A672333
	v_mul_f32_e32 v52, v52, v146                               // 000000008FAC: 0A692534
	v_mul_f32_e32 v53, v53, v147                               // 000000008FB0: 0A6B2735
	v_mul_f32_e64 v50, v50, s6                                 // 000000008FB4: D1050032 00000D32
	v_mul_f32_e64 v51, v51, s6                                 // 000000008FBC: D1050033 00000D33
	v_mul_f32_e64 v52, v52, s6                                 // 000000008FC4: D1050034 00000D34
	v_mul_f32_e64 v53, v53, s6                                 // 000000008FCC: D1050035 00000D35
	v_exp_f32_e32 v50, v50                                     // 000000008FD4: 7E644132
	v_exp_f32_e32 v51, v51                                     // 000000008FD8: 7E664133
	v_exp_f32_e32 v52, v52                                     // 000000008FDC: 7E684134
	v_exp_f32_e32 v53, v53                                     // 000000008FE0: 7E6A4135
	buffer_load_dwordx4 a[36:39], v41, s[12:15], 0 offen       // 000000008FE4: E05C1000 80832429
	v_add_f32_e64 v50, v50, 1.0                                // 000000008FEC: D1010032 0001E532
	v_add_f32_e64 v51, v51, 1.0                                // 000000008FF4: D1010033 0001E533
	v_add_f32_e64 v52, v52, 1.0                                // 000000008FFC: D1010034 0001E534
	v_add_f32_e64 v53, v53, 1.0                                // 000000009004: D1010035 0001E535
	v_rcp_f32_e32 v50, v50                                     // 00000000900C: 7E644532
	v_rcp_f32_e32 v51, v51                                     // 000000009010: 7E664533
	v_rcp_f32_e32 v52, v52                                     // 000000009014: 7E684534
	v_rcp_f32_e32 v53, v53                                     // 000000009018: 7E6A4535
	v_mul_f32_e32 v144, v144, v50                              // 00000000901C: 0B206590
	v_mul_f32_e32 v145, v145, v51                              // 000000009020: 0B226791
	v_mul_f32_e32 v146, v146, v52                              // 000000009024: 0B246992
	v_mul_f32_e32 v147, v147, v53                              // 000000009028: 0B266B93
	v_mul_f32_e32 v144, v144, v80                              // 00000000902C: 0B20A190
	v_mul_f32_e32 v145, v145, v81                              // 000000009030: 0B22A391
	v_mul_f32_e32 v146, v146, v82                              // 000000009034: 0B24A592
	v_mul_f32_e32 v147, v147, v83                              // 000000009038: 0B26A793
	buffer_load_dwordx4 a[40:43], v42, s[12:15], 0 offen       // 00000000903C: E05C1000 8083282A
	v_mul_f32_e32 v50, v148, v148                              // 000000009044: 0A652994
	v_mul_f32_e32 v51, v149, v149                              // 000000009048: 0A672B95
	v_mul_f32_e32 v52, v150, v150                              // 00000000904C: 0A692D96
	v_mul_f32_e32 v53, v151, v151                              // 000000009050: 0A6B2F97
	v_fma_f32 v50, v50, s77, v1                                // 000000009054: D1CB0032 04049B32
	v_fma_f32 v51, v51, s77, v1                                // 00000000905C: D1CB0033 04049B33
	v_fma_f32 v52, v52, s77, v1                                // 000000009064: D1CB0034 04049B34
	v_fma_f32 v53, v53, s77, v1                                // 00000000906C: D1CB0035 04049B35
	v_mul_f32_e32 v50, v50, v148                               // 000000009074: 0A652932
	v_mul_f32_e32 v51, v51, v149                               // 000000009078: 0A672B33
	v_mul_f32_e32 v52, v52, v150                               // 00000000907C: 0A692D34
	v_mul_f32_e32 v53, v53, v151                               // 000000009080: 0A6B2F35
	v_mul_f32_e64 v50, v50, s6                                 // 000000009084: D1050032 00000D32
	v_mul_f32_e64 v51, v51, s6                                 // 00000000908C: D1050033 00000D33
	v_mul_f32_e64 v52, v52, s6                                 // 000000009094: D1050034 00000D34
	v_mul_f32_e64 v53, v53, s6                                 // 00000000909C: D1050035 00000D35
	v_exp_f32_e32 v50, v50                                     // 0000000090A4: 7E644132
	v_exp_f32_e32 v51, v51                                     // 0000000090A8: 7E664133
	v_exp_f32_e32 v52, v52                                     // 0000000090AC: 7E684134
	v_exp_f32_e32 v53, v53                                     // 0000000090B0: 7E6A4135
	buffer_load_dwordx4 a[44:47], v43, s[12:15], 0 offen       // 0000000090B4: E05C1000 80832C2B
	s_add_u32 s12, s78, s12                                    // 0000000090BC: 800C0C4E
	s_addc_u32 s13, 0, s13                                     // 0000000090C0: 820D0D80
	v_add_f32_e64 v50, v50, 1.0                                // 0000000090C4: D1010032 0001E532
	v_add_f32_e64 v51, v51, 1.0                                // 0000000090CC: D1010033 0001E533
	v_add_f32_e64 v52, v52, 1.0                                // 0000000090D4: D1010034 0001E534
	v_add_f32_e64 v53, v53, 1.0                                // 0000000090DC: D1010035 0001E535
	v_rcp_f32_e32 v50, v50                                     // 0000000090E4: 7E644532
	v_rcp_f32_e32 v51, v51                                     // 0000000090E8: 7E664533
	v_rcp_f32_e32 v52, v52                                     // 0000000090EC: 7E684534
	v_rcp_f32_e32 v53, v53                                     // 0000000090F0: 7E6A4535
	v_mul_f32_e32 v148, v148, v50                              // 0000000090F4: 0B286594
	v_mul_f32_e32 v149, v149, v51                              // 0000000090F8: 0B2A6795
	v_mul_f32_e32 v150, v150, v52                              // 0000000090FC: 0B2C6996
	v_mul_f32_e32 v151, v151, v53                              // 000000009100: 0B2E6B97
	v_mul_f32_e32 v148, v148, v84                              // 000000009104: 0B28A994
	v_mul_f32_e32 v149, v149, v85                              // 000000009108: 0B2AAB95
	v_mul_f32_e32 v150, v150, v86                              // 00000000910C: 0B2CAD96
	v_mul_f32_e32 v151, v151, v87                              // 000000009110: 0B2EAF97
	s_waitcnt vmcnt(20)                                        // 000000009114: BF8C4F74
	buffer_load_dwordx4 a[48:51], v40, s[12:15], 0 offen       // 000000009118: E05C1000 80833028
	v_mul_f32_e32 v50, v152, v152                              // 000000009120: 0A653198
	v_mul_f32_e32 v51, v153, v153                              // 000000009124: 0A673399
	v_mul_f32_e32 v52, v154, v154                              // 000000009128: 0A69359A
	v_mul_f32_e32 v53, v155, v155                              // 00000000912C: 0A6B379B
	v_fma_f32 v50, v50, s77, v1                                // 000000009130: D1CB0032 04049B32
	v_fma_f32 v51, v51, s77, v1                                // 000000009138: D1CB0033 04049B33
	v_fma_f32 v52, v52, s77, v1                                // 000000009140: D1CB0034 04049B34
	v_fma_f32 v53, v53, s77, v1                                // 000000009148: D1CB0035 04049B35
	v_mul_f32_e32 v50, v50, v152                               // 000000009150: 0A653132
	v_mul_f32_e32 v51, v51, v153                               // 000000009154: 0A673333
	v_mul_f32_e32 v52, v52, v154                               // 000000009158: 0A693534
	v_mul_f32_e32 v53, v53, v155                               // 00000000915C: 0A6B3735
	v_mul_f32_e64 v50, v50, s6                                 // 000000009160: D1050032 00000D32
	v_mul_f32_e64 v51, v51, s6                                 // 000000009168: D1050033 00000D33
	v_mul_f32_e64 v52, v52, s6                                 // 000000009170: D1050034 00000D34
	v_mul_f32_e64 v53, v53, s6                                 // 000000009178: D1050035 00000D35
	v_exp_f32_e32 v50, v50                                     // 000000009180: 7E644132
	v_exp_f32_e32 v51, v51                                     // 000000009184: 7E664133
	v_exp_f32_e32 v52, v52                                     // 000000009188: 7E684134
	v_exp_f32_e32 v53, v53                                     // 00000000918C: 7E6A4135
	buffer_load_dwordx4 a[52:55], v41, s[12:15], 0 offen       // 000000009190: E05C1000 80833429
	v_add_f32_e64 v50, v50, 1.0                                // 000000009198: D1010032 0001E532
	v_add_f32_e64 v51, v51, 1.0                                // 0000000091A0: D1010033 0001E533
	v_add_f32_e64 v52, v52, 1.0                                // 0000000091A8: D1010034 0001E534
	v_add_f32_e64 v53, v53, 1.0                                // 0000000091B0: D1010035 0001E535
	v_rcp_f32_e32 v50, v50                                     // 0000000091B8: 7E644532
	v_rcp_f32_e32 v51, v51                                     // 0000000091BC: 7E664533
	v_rcp_f32_e32 v52, v52                                     // 0000000091C0: 7E684534
	v_rcp_f32_e32 v53, v53                                     // 0000000091C4: 7E6A4535
	v_mul_f32_e32 v152, v152, v50                              // 0000000091C8: 0B306598
	v_mul_f32_e32 v153, v153, v51                              // 0000000091CC: 0B326799
	v_mul_f32_e32 v154, v154, v52                              // 0000000091D0: 0B34699A
	v_mul_f32_e32 v155, v155, v53                              // 0000000091D4: 0B366B9B
	v_mul_f32_e32 v152, v152, v88                              // 0000000091D8: 0B30B198
	v_mul_f32_e32 v153, v153, v89                              // 0000000091DC: 0B32B399
	v_mul_f32_e32 v154, v154, v90                              // 0000000091E0: 0B34B59A
	v_mul_f32_e32 v155, v155, v91                              // 0000000091E4: 0B36B79B
	buffer_load_dwordx4 a[56:59], v42, s[12:15], 0 offen       // 0000000091E8: E05C1000 8083382A
	v_mul_f32_e32 v50, v156, v156                              // 0000000091F0: 0A65399C
	v_mul_f32_e32 v51, v157, v157                              // 0000000091F4: 0A673B9D
	v_mul_f32_e32 v52, v158, v158                              // 0000000091F8: 0A693D9E
	v_mul_f32_e32 v53, v159, v159                              // 0000000091FC: 0A6B3F9F
	v_fma_f32 v50, v50, s77, v1                                // 000000009200: D1CB0032 04049B32
	v_fma_f32 v51, v51, s77, v1                                // 000000009208: D1CB0033 04049B33
	v_fma_f32 v52, v52, s77, v1                                // 000000009210: D1CB0034 04049B34
	v_fma_f32 v53, v53, s77, v1                                // 000000009218: D1CB0035 04049B35
	v_mul_f32_e32 v50, v50, v156                               // 000000009220: 0A653932
	v_mul_f32_e32 v51, v51, v157                               // 000000009224: 0A673B33
	v_mul_f32_e32 v52, v52, v158                               // 000000009228: 0A693D34
	v_mul_f32_e32 v53, v53, v159                               // 00000000922C: 0A6B3F35
	v_mul_f32_e64 v50, v50, s6                                 // 000000009230: D1050032 00000D32
	v_mul_f32_e64 v51, v51, s6                                 // 000000009238: D1050033 00000D33
	v_mul_f32_e64 v52, v52, s6                                 // 000000009240: D1050034 00000D34
	v_mul_f32_e64 v53, v53, s6                                 // 000000009248: D1050035 00000D35
	v_exp_f32_e32 v50, v50                                     // 000000009250: 7E644132
	v_exp_f32_e32 v51, v51                                     // 000000009254: 7E664133
	v_exp_f32_e32 v52, v52                                     // 000000009258: 7E684134
	v_exp_f32_e32 v53, v53                                     // 00000000925C: 7E6A4135
	buffer_load_dwordx4 a[60:63], v43, s[12:15], 0 offen       // 000000009260: E05C1000 80833C2B
	s_add_u32 s12, s78, s12                                    // 000000009268: 800C0C4E
	s_addc_u32 s13, 0, s13                                     // 00000000926C: 820D0D80
	v_add_f32_e64 v50, v50, 1.0                                // 000000009270: D1010032 0001E532
	v_add_f32_e64 v51, v51, 1.0                                // 000000009278: D1010033 0001E533
	v_add_f32_e64 v52, v52, 1.0                                // 000000009280: D1010034 0001E534
	v_add_f32_e64 v53, v53, 1.0                                // 000000009288: D1010035 0001E535
	v_rcp_f32_e32 v50, v50                                     // 000000009290: 7E644532
	v_rcp_f32_e32 v51, v51                                     // 000000009294: 7E664533
	v_rcp_f32_e32 v52, v52                                     // 000000009298: 7E684534
	v_rcp_f32_e32 v53, v53                                     // 00000000929C: 7E6A4535
	v_mul_f32_e32 v156, v156, v50                              // 0000000092A0: 0B38659C
	v_mul_f32_e32 v157, v157, v51                              // 0000000092A4: 0B3A679D
	v_mul_f32_e32 v158, v158, v52                              // 0000000092A8: 0B3C699E
	v_mul_f32_e32 v159, v159, v53                              // 0000000092AC: 0B3E6B9F
	v_mul_f32_e32 v156, v156, v92                              // 0000000092B0: 0B38B99C
	v_mul_f32_e32 v157, v157, v93                              // 0000000092B4: 0B3ABB9D
	v_mul_f32_e32 v158, v158, v94                              // 0000000092B8: 0B3CBD9E
	v_mul_f32_e32 v159, v159, v95                              // 0000000092BC: 0B3EBF9F
	s_waitcnt vmcnt(20)                                        // 0000000092C0: BF8C4F74
	buffer_load_dwordx4 a[64:67], v40, s[12:15], 0 offen       // 0000000092C4: E05C1000 80834028
	v_mul_f32_e32 v50, v160, v160                              // 0000000092CC: 0A6541A0
	v_mul_f32_e32 v51, v161, v161                              // 0000000092D0: 0A6743A1
	v_mul_f32_e32 v52, v162, v162                              // 0000000092D4: 0A6945A2
	v_mul_f32_e32 v53, v163, v163                              // 0000000092D8: 0A6B47A3
	v_fma_f32 v50, v50, s77, v1                                // 0000000092DC: D1CB0032 04049B32
	v_fma_f32 v51, v51, s77, v1                                // 0000000092E4: D1CB0033 04049B33
	v_fma_f32 v52, v52, s77, v1                                // 0000000092EC: D1CB0034 04049B34
	v_fma_f32 v53, v53, s77, v1                                // 0000000092F4: D1CB0035 04049B35
	v_mul_f32_e32 v50, v50, v160                               // 0000000092FC: 0A654132
	v_mul_f32_e32 v51, v51, v161                               // 000000009300: 0A674333
	v_mul_f32_e32 v52, v52, v162                               // 000000009304: 0A694534
	v_mul_f32_e32 v53, v53, v163                               // 000000009308: 0A6B4735
	v_mul_f32_e64 v50, v50, s6                                 // 00000000930C: D1050032 00000D32
	v_mul_f32_e64 v51, v51, s6                                 // 000000009314: D1050033 00000D33
	v_mul_f32_e64 v52, v52, s6                                 // 00000000931C: D1050034 00000D34
	v_mul_f32_e64 v53, v53, s6                                 // 000000009324: D1050035 00000D35
	v_exp_f32_e32 v50, v50                                     // 00000000932C: 7E644132
	v_exp_f32_e32 v51, v51                                     // 000000009330: 7E664133
	v_exp_f32_e32 v52, v52                                     // 000000009334: 7E684134
	v_exp_f32_e32 v53, v53                                     // 000000009338: 7E6A4135
	buffer_load_dwordx4 a[68:71], v41, s[12:15], 0 offen       // 00000000933C: E05C1000 80834429
	v_add_f32_e64 v50, v50, 1.0                                // 000000009344: D1010032 0001E532
	v_add_f32_e64 v51, v51, 1.0                                // 00000000934C: D1010033 0001E533
	v_add_f32_e64 v52, v52, 1.0                                // 000000009354: D1010034 0001E534
	v_add_f32_e64 v53, v53, 1.0                                // 00000000935C: D1010035 0001E535
	v_rcp_f32_e32 v50, v50                                     // 000000009364: 7E644532
	v_rcp_f32_e32 v51, v51                                     // 000000009368: 7E664533
	v_rcp_f32_e32 v52, v52                                     // 00000000936C: 7E684534
	v_rcp_f32_e32 v53, v53                                     // 000000009370: 7E6A4535
	v_mul_f32_e32 v160, v160, v50                              // 000000009374: 0B4065A0
	v_mul_f32_e32 v161, v161, v51                              // 000000009378: 0B4267A1
	v_mul_f32_e32 v162, v162, v52                              // 00000000937C: 0B4469A2
	v_mul_f32_e32 v163, v163, v53                              // 000000009380: 0B466BA3
	v_mul_f32_e32 v160, v160, v96                              // 000000009384: 0B40C1A0
	v_mul_f32_e32 v161, v161, v97                              // 000000009388: 0B42C3A1
	v_mul_f32_e32 v162, v162, v98                              // 00000000938C: 0B44C5A2
	v_mul_f32_e32 v163, v163, v99                              // 000000009390: 0B46C7A3
	buffer_load_dwordx4 a[72:75], v42, s[12:15], 0 offen       // 000000009394: E05C1000 8083482A
	v_mul_f32_e32 v50, v164, v164                              // 00000000939C: 0A6549A4
	v_mul_f32_e32 v51, v165, v165                              // 0000000093A0: 0A674BA5
	v_mul_f32_e32 v52, v166, v166                              // 0000000093A4: 0A694DA6
	v_mul_f32_e32 v53, v167, v167                              // 0000000093A8: 0A6B4FA7
	v_fma_f32 v50, v50, s77, v1                                // 0000000093AC: D1CB0032 04049B32
	v_fma_f32 v51, v51, s77, v1                                // 0000000093B4: D1CB0033 04049B33
	v_fma_f32 v52, v52, s77, v1                                // 0000000093BC: D1CB0034 04049B34
	v_fma_f32 v53, v53, s77, v1                                // 0000000093C4: D1CB0035 04049B35
	v_mul_f32_e32 v50, v50, v164                               // 0000000093CC: 0A654932
	v_mul_f32_e32 v51, v51, v165                               // 0000000093D0: 0A674B33
	v_mul_f32_e32 v52, v52, v166                               // 0000000093D4: 0A694D34
	v_mul_f32_e32 v53, v53, v167                               // 0000000093D8: 0A6B4F35
	v_mul_f32_e64 v50, v50, s6                                 // 0000000093DC: D1050032 00000D32
	v_mul_f32_e64 v51, v51, s6                                 // 0000000093E4: D1050033 00000D33
	v_mul_f32_e64 v52, v52, s6                                 // 0000000093EC: D1050034 00000D34
	v_mul_f32_e64 v53, v53, s6                                 // 0000000093F4: D1050035 00000D35
	v_exp_f32_e32 v50, v50                                     // 0000000093FC: 7E644132
	v_exp_f32_e32 v51, v51                                     // 000000009400: 7E664133
	v_exp_f32_e32 v52, v52                                     // 000000009404: 7E684134
	v_exp_f32_e32 v53, v53                                     // 000000009408: 7E6A4135
	buffer_load_dwordx4 a[76:79], v43, s[12:15], 0 offen       // 00000000940C: E05C1000 80834C2B
	s_add_u32 s12, s78, s12                                    // 000000009414: 800C0C4E
	s_addc_u32 s13, 0, s13                                     // 000000009418: 820D0D80
	v_add_f32_e64 v50, v50, 1.0                                // 00000000941C: D1010032 0001E532
	v_add_f32_e64 v51, v51, 1.0                                // 000000009424: D1010033 0001E533
	v_add_f32_e64 v52, v52, 1.0                                // 00000000942C: D1010034 0001E534
	v_add_f32_e64 v53, v53, 1.0                                // 000000009434: D1010035 0001E535
	v_rcp_f32_e32 v50, v50                                     // 00000000943C: 7E644532
	v_rcp_f32_e32 v51, v51                                     // 000000009440: 7E664533
	v_rcp_f32_e32 v52, v52                                     // 000000009444: 7E684534
	v_rcp_f32_e32 v53, v53                                     // 000000009448: 7E6A4535
	v_mul_f32_e32 v164, v164, v50                              // 00000000944C: 0B4865A4
	v_mul_f32_e32 v165, v165, v51                              // 000000009450: 0B4A67A5
	v_mul_f32_e32 v166, v166, v52                              // 000000009454: 0B4C69A6
	v_mul_f32_e32 v167, v167, v53                              // 000000009458: 0B4E6BA7
	v_mul_f32_e32 v164, v164, v100                             // 00000000945C: 0B48C9A4
	v_mul_f32_e32 v165, v165, v101                             // 000000009460: 0B4ACBA5
	v_mul_f32_e32 v166, v166, v102                             // 000000009464: 0B4CCDA6
	v_mul_f32_e32 v167, v167, v103                             // 000000009468: 0B4ECFA7
	s_waitcnt vmcnt(20)                                        // 00000000946C: BF8C4F74
	buffer_load_dwordx4 a[80:83], v40, s[12:15], 0 offen       // 000000009470: E05C1000 80835028
	v_mul_f32_e32 v50, v168, v168                              // 000000009478: 0A6551A8
	v_mul_f32_e32 v51, v169, v169                              // 00000000947C: 0A6753A9
	v_mul_f32_e32 v52, v170, v170                              // 000000009480: 0A6955AA
	v_mul_f32_e32 v53, v171, v171                              // 000000009484: 0A6B57AB
	v_fma_f32 v50, v50, s77, v1                                // 000000009488: D1CB0032 04049B32
	v_fma_f32 v51, v51, s77, v1                                // 000000009490: D1CB0033 04049B33
	v_fma_f32 v52, v52, s77, v1                                // 000000009498: D1CB0034 04049B34
	v_fma_f32 v53, v53, s77, v1                                // 0000000094A0: D1CB0035 04049B35
	v_mul_f32_e32 v50, v50, v168                               // 0000000094A8: 0A655132
	v_mul_f32_e32 v51, v51, v169                               // 0000000094AC: 0A675333
	v_mul_f32_e32 v52, v52, v170                               // 0000000094B0: 0A695534
	v_mul_f32_e32 v53, v53, v171                               // 0000000094B4: 0A6B5735
	v_mul_f32_e64 v50, v50, s6                                 // 0000000094B8: D1050032 00000D32
	v_mul_f32_e64 v51, v51, s6                                 // 0000000094C0: D1050033 00000D33
	v_mul_f32_e64 v52, v52, s6                                 // 0000000094C8: D1050034 00000D34
	v_mul_f32_e64 v53, v53, s6                                 // 0000000094D0: D1050035 00000D35
	v_exp_f32_e32 v50, v50                                     // 0000000094D8: 7E644132
	v_exp_f32_e32 v51, v51                                     // 0000000094DC: 7E664133
	v_exp_f32_e32 v52, v52                                     // 0000000094E0: 7E684134
	v_exp_f32_e32 v53, v53                                     // 0000000094E4: 7E6A4135
	buffer_load_dwordx4 a[84:87], v41, s[12:15], 0 offen       // 0000000094E8: E05C1000 80835429
	v_add_f32_e64 v50, v50, 1.0                                // 0000000094F0: D1010032 0001E532
	v_add_f32_e64 v51, v51, 1.0                                // 0000000094F8: D1010033 0001E533
	v_add_f32_e64 v52, v52, 1.0                                // 000000009500: D1010034 0001E534
	v_add_f32_e64 v53, v53, 1.0                                // 000000009508: D1010035 0001E535
	v_rcp_f32_e32 v50, v50                                     // 000000009510: 7E644532
	v_rcp_f32_e32 v51, v51                                     // 000000009514: 7E664533
	v_rcp_f32_e32 v52, v52                                     // 000000009518: 7E684534
	v_rcp_f32_e32 v53, v53                                     // 00000000951C: 7E6A4535
	v_mul_f32_e32 v168, v168, v50                              // 000000009520: 0B5065A8
	v_mul_f32_e32 v169, v169, v51                              // 000000009524: 0B5267A9
	v_mul_f32_e32 v170, v170, v52                              // 000000009528: 0B5469AA
	v_mul_f32_e32 v171, v171, v53                              // 00000000952C: 0B566BAB
	v_mul_f32_e32 v168, v168, v104                             // 000000009530: 0B50D1A8
	v_mul_f32_e32 v169, v169, v105                             // 000000009534: 0B52D3A9
	v_mul_f32_e32 v170, v170, v106                             // 000000009538: 0B54D5AA
	v_mul_f32_e32 v171, v171, v107                             // 00000000953C: 0B56D7AB
	buffer_load_dwordx4 a[88:91], v42, s[12:15], 0 offen       // 000000009540: E05C1000 8083582A
	v_mul_f32_e32 v50, v172, v172                              // 000000009548: 0A6559AC
	v_mul_f32_e32 v51, v173, v173                              // 00000000954C: 0A675BAD
	v_mul_f32_e32 v52, v174, v174                              // 000000009550: 0A695DAE
	v_mul_f32_e32 v53, v175, v175                              // 000000009554: 0A6B5FAF
	v_fma_f32 v50, v50, s77, v1                                // 000000009558: D1CB0032 04049B32
	v_fma_f32 v51, v51, s77, v1                                // 000000009560: D1CB0033 04049B33
	v_fma_f32 v52, v52, s77, v1                                // 000000009568: D1CB0034 04049B34
	v_fma_f32 v53, v53, s77, v1                                // 000000009570: D1CB0035 04049B35
	v_mul_f32_e32 v50, v50, v172                               // 000000009578: 0A655932
	v_mul_f32_e32 v51, v51, v173                               // 00000000957C: 0A675B33
	v_mul_f32_e32 v52, v52, v174                               // 000000009580: 0A695D34
	v_mul_f32_e32 v53, v53, v175                               // 000000009584: 0A6B5F35
	v_mul_f32_e64 v50, v50, s6                                 // 000000009588: D1050032 00000D32
	v_mul_f32_e64 v51, v51, s6                                 // 000000009590: D1050033 00000D33
	v_mul_f32_e64 v52, v52, s6                                 // 000000009598: D1050034 00000D34
	v_mul_f32_e64 v53, v53, s6                                 // 0000000095A0: D1050035 00000D35
	v_exp_f32_e32 v50, v50                                     // 0000000095A8: 7E644132
	v_exp_f32_e32 v51, v51                                     // 0000000095AC: 7E664133
	v_exp_f32_e32 v52, v52                                     // 0000000095B0: 7E684134
	v_exp_f32_e32 v53, v53                                     // 0000000095B4: 7E6A4135
	buffer_load_dwordx4 a[92:95], v43, s[12:15], 0 offen       // 0000000095B8: E05C1000 80835C2B
	v_add_f32_e64 v50, v50, 1.0                                // 0000000095C0: D1010032 0001E532
	v_add_f32_e64 v51, v51, 1.0                                // 0000000095C8: D1010033 0001E533
	v_add_f32_e64 v52, v52, 1.0                                // 0000000095D0: D1010034 0001E534
	v_add_f32_e64 v53, v53, 1.0                                // 0000000095D8: D1010035 0001E535
	v_rcp_f32_e32 v50, v50                                     // 0000000095E0: 7E644532
	v_rcp_f32_e32 v51, v51                                     // 0000000095E4: 7E664533
	v_rcp_f32_e32 v52, v52                                     // 0000000095E8: 7E684534
	v_rcp_f32_e32 v53, v53                                     // 0000000095EC: 7E6A4535
	v_mul_f32_e32 v172, v172, v50                              // 0000000095F0: 0B5865AC
	v_mul_f32_e32 v173, v173, v51                              // 0000000095F4: 0B5A67AD
	v_mul_f32_e32 v174, v174, v52                              // 0000000095F8: 0B5C69AE
	v_mul_f32_e32 v175, v175, v53                              // 0000000095FC: 0B5E6BAF
	v_mul_f32_e32 v172, v172, v108                             // 000000009600: 0B58D9AC
	v_mul_f32_e32 v173, v173, v109                             // 000000009604: 0B5ADBAD
	v_mul_f32_e32 v174, v174, v110                             // 000000009608: 0B5CDDAE
	v_mul_f32_e32 v175, v175, v111                             // 00000000960C: 0B5EDFAF
	v_lshlrev_b32_e32 v50, 2, v0                               // 000000009610: 24640082
	s_mul_i32 s60, s82, s71                                    // 000000009614: 923C4752
	v_add_u32_e64 v80, v50, s60                                // 000000009618: D1340050 00007932
	v_mov_b32_e32 v81, 0                                       // 000000009620: 7EA20280
	s_mul_i32 s60, s83, s71                                    // 000000009624: 923C4753
	v_add_u32_e64 v82, v50, s60                                // 000000009628: D1340052 00007932
	v_mov_b32_e32 v83, 0                                       // 000000009630: 7EA60280
	s_mul_i32 s60, s84, s71                                    // 000000009634: 923C4754
	v_add_u32_e64 v84, v50, s60                                // 000000009638: D1340054 00007932
	v_mov_b32_e32 v85, 0                                       // 000000009640: 7EAA0280
	s_mul_i32 s60, s85, s71                                    // 000000009644: 923C4755
	v_add_u32_e64 v86, v50, s60                                // 000000009648: D1340056 00007932
	v_mov_b32_e32 v87, 0                                       // 000000009650: 7EAE0280
	s_mul_i32 s60, s86, s71                                    // 000000009654: 923C4756
	v_add_u32_e64 v88, v50, s60                                // 000000009658: D1340058 00007932
	v_mov_b32_e32 v89, 0                                       // 000000009660: 7EB20280
	s_mul_i32 s60, s87, s71                                    // 000000009664: 923C4757
	v_add_u32_e64 v90, v50, s60                                // 000000009668: D134005A 00007932
	v_mov_b32_e32 v91, 0                                       // 000000009670: 7EB60280
	s_mul_i32 s60, s88, s71                                    // 000000009674: 923C4758
	v_add_u32_e64 v92, v50, s60                                // 000000009678: D134005C 00007932
	v_mov_b32_e32 v93, 0                                       // 000000009680: 7EBA0280
	s_mul_i32 s60, s89, s71                                    // 000000009684: 923C4759
	v_add_u32_e64 v94, v50, s60                                // 000000009688: D134005E 00007932
	v_mov_b32_e32 v95, 0                                       // 000000009690: 7EBE0280
	buffer_load_dword v12, v5, s[16:19], 0 offen               // 000000009694: E0501000 80040C05
	v_mov_b32_e32 v22, 0x358637bd                              // 00000000969C: 7E2C02FF 358637BD
	v_mov_b32_e32 v23, 0x358637bd                              // 0000000096A4: 7E2E02FF 358637BD
	v_max3_f32 v22, |v128|, |v129|, v22                        // 0000000096AC: D1D30316 045B0380
	v_max3_f32 v22, |v130|, |v131|, v22                        // 0000000096B4: D1D30316 045B0782
	v_max3_f32 v23, |v132|, |v133|, v23                        // 0000000096BC: D1D30317 045F0B84
	v_max3_f32 v23, |v134|, |v135|, v23                        // 0000000096C4: D1D30317 045F0F86
	v_max3_f32 v22, |v136|, |v137|, v22                        // 0000000096CC: D1D30316 045B1388
	v_max3_f32 v22, |v138|, |v139|, v22                        // 0000000096D4: D1D30316 045B178A
	v_max3_f32 v23, |v140|, |v141|, v23                        // 0000000096DC: D1D30317 045F1B8C
	v_max3_f32 v23, |v142|, |v143|, v23                        // 0000000096E4: D1D30317 045F1F8E
	v_max3_f32 v22, |v144|, |v145|, v22                        // 0000000096EC: D1D30316 045B2390
	v_max3_f32 v22, |v146|, |v147|, v22                        // 0000000096F4: D1D30316 045B2792
	v_max3_f32 v23, |v148|, |v149|, v23                        // 0000000096FC: D1D30317 045F2B94
	v_max3_f32 v23, |v150|, |v151|, v23                        // 000000009704: D1D30317 045F2F96
	v_max3_f32 v22, |v152|, |v153|, v22                        // 00000000970C: D1D30316 045B3398
	v_max3_f32 v22, |v154|, |v155|, v22                        // 000000009714: D1D30316 045B379A
	v_max3_f32 v23, |v156|, |v157|, v23                        // 00000000971C: D1D30317 045F3B9C
	v_max3_f32 v23, |v158|, |v159|, v23                        // 000000009724: D1D30317 045F3F9E
	v_max3_f32 v22, |v160|, |v161|, v22                        // 00000000972C: D1D30316 045B43A0
	v_max3_f32 v22, |v162|, |v163|, v22                        // 000000009734: D1D30316 045B47A2
	v_max3_f32 v23, |v164|, |v165|, v23                        // 00000000973C: D1D30317 045F4BA4
	v_max3_f32 v23, |v166|, |v167|, v23                        // 000000009744: D1D30317 045F4FA6
	v_max3_f32 v22, |v168|, |v169|, v22                        // 00000000974C: D1D30316 045B53A8
	v_max3_f32 v22, |v170|, |v171|, v22                        // 000000009754: D1D30316 045B57AA
	v_max3_f32 v23, |v172|, |v173|, v23                        // 00000000975C: D1D30317 045F5BAC
	v_max3_f32 v23, |v174|, |v175|, v23                        // 000000009764: D1D30317 045F5FAE
	v_lshlrev_b32_e32 v50, 3, v0                               // 00000000976C: 24640083
	s_mul_i32 s60, 0x200, s7                                   // 000000009770: 923C07FF 00000200
	v_add_u32_e32 v50, s60, v50                                // 000000009778: 6864643C
	ds_write_b64 v50, v[22:23] offset:16640                    // 00000000977C: D89A4100 00001632
	s_waitcnt lgkmcnt(0)                                       // 000000009784: BF8CC07F
	s_barrier                                                  // 000000009788: BF8A0000
	v_and_b32_e32 v50, 15, v0                                  // 00000000978C: 2664008F
	v_lshlrev_b32_e32 v50, 3, v50                              // 000000009790: 24646483
	ds_read_b64 v[96:97], v50 offset:16640                     // 000000009794: D8EC4100 60000032
	ds_read_b64 v[98:99], v50 offset:16768                     // 00000000979C: D8EC4180 62000032
	ds_read_b64 v[100:101], v50 offset:16896                   // 0000000097A4: D8EC4200 64000032
	ds_read_b64 v[102:103], v50 offset:17024                   // 0000000097AC: D8EC4280 66000032
	ds_read_b64 v[104:105], v50 offset:17152                   // 0000000097B4: D8EC4300 68000032
	ds_read_b64 v[106:107], v50 offset:17280                   // 0000000097BC: D8EC4380 6A000032
	ds_read_b64 v[108:109], v50 offset:17408                   // 0000000097C4: D8EC4400 6C000032
	ds_read_b64 v[110:111], v50 offset:17536                   // 0000000097CC: D8EC4480 6E000032
	ds_read_b64 v[112:113], v50 offset:17664                   // 0000000097D4: D8EC4500 70000032
	ds_read_b64 v[114:115], v50 offset:17792                   // 0000000097DC: D8EC4580 72000032
	ds_read_b64 v[116:117], v50 offset:17920                   // 0000000097E4: D8EC4600 74000032
	ds_read_b64 v[118:119], v50 offset:18048                   // 0000000097EC: D8EC4680 76000032
	ds_read_b64 v[120:121], v50 offset:18176                   // 0000000097F4: D8EC4700 78000032
	ds_read_b64 v[122:123], v50 offset:18304                   // 0000000097FC: D8EC4780 7A000032
	ds_read_b64 v[124:125], v50 offset:18432                   // 000000009804: D8EC4800 7C000032
	ds_read_b64 v[126:127], v50 offset:18560                   // 00000000980C: D8EC4880 7E000032
	s_waitcnt lgkmcnt(0)                                       // 000000009814: BF8CC07F
	v_max3_f32 v22, |v96|, |v98|, v22                          // 000000009818: D1D30316 045AC560
	v_max3_f32 v23, |v97|, |v99|, v23                          // 000000009820: D1D30317 045EC761
	v_max3_f32 v22, |v100|, |v102|, v22                        // 000000009828: D1D30316 045ACD64
	v_max3_f32 v23, |v101|, |v103|, v23                        // 000000009830: D1D30317 045ECF65
	v_max3_f32 v22, |v104|, |v106|, v22                        // 000000009838: D1D30316 045AD568
	v_max3_f32 v23, |v105|, |v107|, v23                        // 000000009840: D1D30317 045ED769
	v_max3_f32 v22, |v108|, |v110|, v22                        // 000000009848: D1D30316 045ADD6C
	v_max3_f32 v23, |v109|, |v111|, v23                        // 000000009850: D1D30317 045EDF6D
	v_max3_f32 v22, |v112|, |v114|, v22                        // 000000009858: D1D30316 045AE570
	v_max3_f32 v23, |v113|, |v115|, v23                        // 000000009860: D1D30317 045EE771
	v_max3_f32 v22, |v116|, |v118|, v22                        // 000000009868: D1D30316 045AED74
	v_max3_f32 v23, |v117|, |v119|, v23                        // 000000009870: D1D30317 045EEF75
	v_max3_f32 v22, |v120|, |v122|, v22                        // 000000009878: D1D30316 045AF578
	v_max3_f32 v23, |v121|, |v123|, v23                        // 000000009880: D1D30317 045EF779
	v_max3_f32 v22, |v124|, |v126|, v22                        // 000000009888: D1D30316 045AFD7C
	v_max3_f32 v23, |v125|, |v127|, v23                        // 000000009890: D1D30317 045EFF7D
	v_rcp_f32_e32 v22, v22                                     // 000000009898: 7E2C4516
	v_rcp_f32_e32 v23, v23                                     // 00000000989C: 7E2E4517
	v_mov_b32_e32 v50, 0x43700000                              // 0000000098A0: 7E6402FF 43700000
	v_mul_f32_e32 v22, v50, v22                                // 0000000098A8: 0A2C2D32
	v_mul_f32_e32 v23, v50, v23                                // 0000000098AC: 0A2E2F32
	v_mul_f32_e32 v128, v22, v128                              // 0000000098B0: 0B010116
	v_mul_f32_e32 v129, v22, v129                              // 0000000098B4: 0B030316
	v_mul_f32_e32 v130, v22, v130                              // 0000000098B8: 0B050516
	v_mul_f32_e32 v131, v22, v131                              // 0000000098BC: 0B070716
	v_cvt_pk_fp8_f32 v128, v128, v129                          // 0000000098C0: D2A20080 00030380
	v_cvt_pk_fp8_f32 v128, v130, v131 op_sel:[0,0,1]           // 0000000098C8: D2A24080 00030782
	v_mul_f32_e32 v132, v23, v132                              // 0000000098D0: 0B090917
	v_mul_f32_e32 v133, v23, v133                              // 0000000098D4: 0B0B0B17
	v_mul_f32_e32 v134, v23, v134                              // 0000000098D8: 0B0D0D17
	v_mul_f32_e32 v135, v23, v135                              // 0000000098DC: 0B0F0F17
	v_cvt_pk_fp8_f32 v129, v132, v133                          // 0000000098E0: D2A20081 00030B84
	v_cvt_pk_fp8_f32 v129, v134, v135 op_sel:[0,0,1]           // 0000000098E8: D2A24081 00030F86
	v_mul_f32_e32 v136, v22, v136                              // 0000000098F0: 0B111116
	v_mul_f32_e32 v137, v22, v137                              // 0000000098F4: 0B131316
	v_mul_f32_e32 v138, v22, v138                              // 0000000098F8: 0B151516
	v_mul_f32_e32 v139, v22, v139                              // 0000000098FC: 0B171716
	v_cvt_pk_fp8_f32 v130, v136, v137                          // 000000009900: D2A20082 00031388
	v_cvt_pk_fp8_f32 v130, v138, v139 op_sel:[0,0,1]           // 000000009908: D2A24082 0003178A
	v_mul_f32_e32 v140, v23, v140                              // 000000009910: 0B191917
	v_mul_f32_e32 v141, v23, v141                              // 000000009914: 0B1B1B17
	v_mul_f32_e32 v142, v23, v142                              // 000000009918: 0B1D1D17
	v_mul_f32_e32 v143, v23, v143                              // 00000000991C: 0B1F1F17
	v_cvt_pk_fp8_f32 v131, v140, v141                          // 000000009920: D2A20083 00031B8C
	v_cvt_pk_fp8_f32 v131, v142, v143 op_sel:[0,0,1]           // 000000009928: D2A24083 00031F8E
	v_mul_f32_e32 v144, v22, v144                              // 000000009930: 0B212116
	v_mul_f32_e32 v145, v22, v145                              // 000000009934: 0B232316
	v_mul_f32_e32 v146, v22, v146                              // 000000009938: 0B252516
	v_mul_f32_e32 v147, v22, v147                              // 00000000993C: 0B272716
	v_cvt_pk_fp8_f32 v132, v144, v145                          // 000000009940: D2A20084 00032390
	v_cvt_pk_fp8_f32 v132, v146, v147 op_sel:[0,0,1]           // 000000009948: D2A24084 00032792
	v_mul_f32_e32 v148, v23, v148                              // 000000009950: 0B292917
	v_mul_f32_e32 v149, v23, v149                              // 000000009954: 0B2B2B17
	v_mul_f32_e32 v150, v23, v150                              // 000000009958: 0B2D2D17
	v_mul_f32_e32 v151, v23, v151                              // 00000000995C: 0B2F2F17
	v_cvt_pk_fp8_f32 v133, v148, v149                          // 000000009960: D2A20085 00032B94
	v_cvt_pk_fp8_f32 v133, v150, v151 op_sel:[0,0,1]           // 000000009968: D2A24085 00032F96
	v_mul_f32_e32 v152, v22, v152                              // 000000009970: 0B313116
	v_mul_f32_e32 v153, v22, v153                              // 000000009974: 0B333316
	v_mul_f32_e32 v154, v22, v154                              // 000000009978: 0B353516
	v_mul_f32_e32 v155, v22, v155                              // 00000000997C: 0B373716
	v_cvt_pk_fp8_f32 v134, v152, v153                          // 000000009980: D2A20086 00033398
	v_cvt_pk_fp8_f32 v134, v154, v155 op_sel:[0,0,1]           // 000000009988: D2A24086 0003379A
	v_mul_f32_e32 v156, v23, v156                              // 000000009990: 0B393917
	v_mul_f32_e32 v157, v23, v157                              // 000000009994: 0B3B3B17
	v_mul_f32_e32 v158, v23, v158                              // 000000009998: 0B3D3D17
	v_mul_f32_e32 v159, v23, v159                              // 00000000999C: 0B3F3F17
	v_cvt_pk_fp8_f32 v135, v156, v157                          // 0000000099A0: D2A20087 00033B9C
	v_cvt_pk_fp8_f32 v135, v158, v159 op_sel:[0,0,1]           // 0000000099A8: D2A24087 00033F9E
	v_mul_f32_e32 v160, v22, v160                              // 0000000099B0: 0B414116
	v_mul_f32_e32 v161, v22, v161                              // 0000000099B4: 0B434316
	v_mul_f32_e32 v162, v22, v162                              // 0000000099B8: 0B454516
	v_mul_f32_e32 v163, v22, v163                              // 0000000099BC: 0B474716
	v_cvt_pk_fp8_f32 v136, v160, v161                          // 0000000099C0: D2A20088 000343A0
	v_cvt_pk_fp8_f32 v136, v162, v163 op_sel:[0,0,1]           // 0000000099C8: D2A24088 000347A2
	v_mul_f32_e32 v164, v23, v164                              // 0000000099D0: 0B494917
	v_mul_f32_e32 v165, v23, v165                              // 0000000099D4: 0B4B4B17
	v_mul_f32_e32 v166, v23, v166                              // 0000000099D8: 0B4D4D17
	v_mul_f32_e32 v167, v23, v167                              // 0000000099DC: 0B4F4F17
	v_cvt_pk_fp8_f32 v137, v164, v165                          // 0000000099E0: D2A20089 00034BA4
	v_cvt_pk_fp8_f32 v137, v166, v167 op_sel:[0,0,1]           // 0000000099E8: D2A24089 00034FA6
	v_mul_f32_e32 v168, v22, v168                              // 0000000099F0: 0B515116
	v_mul_f32_e32 v169, v22, v169                              // 0000000099F4: 0B535316
	v_mul_f32_e32 v170, v22, v170                              // 0000000099F8: 0B555516
	v_mul_f32_e32 v171, v22, v171                              // 0000000099FC: 0B575716
	v_cvt_pk_fp8_f32 v138, v168, v169                          // 000000009A00: D2A2008A 000353A8
	v_cvt_pk_fp8_f32 v138, v170, v171 op_sel:[0,0,1]           // 000000009A08: D2A2408A 000357AA
	v_mul_f32_e32 v172, v23, v172                              // 000000009A10: 0B595917
	v_mul_f32_e32 v173, v23, v173                              // 000000009A14: 0B5B5B17
	v_mul_f32_e32 v174, v23, v174                              // 000000009A18: 0B5D5D17
	v_mul_f32_e32 v175, v23, v175                              // 000000009A1C: 0B5F5F17
	v_cvt_pk_fp8_f32 v139, v172, v173                          // 000000009A20: D2A2008B 00035BAC
	v_cvt_pk_fp8_f32 v139, v174, v175 op_sel:[0,0,1]           // 000000009A28: D2A2408B 00035FAE
	v_rcp_f32_e32 v24, v22                                     // 000000009A30: 7E304516
	v_rcp_f32_e32 v25, v23                                     // 000000009A34: 7E324517
	v_lshrrev_b32_e32 v50, 5, v0                               // 000000009A38: 20640085
	v_lshlrev_b32_e32 v51, 5, v50                              // 000000009A3C: 24666485
	v_and_b32_e32 v50, 31, v0                                  // 000000009A40: 2664009F
	v_lshrrev_b32_e32 v52, 4, v50                              // 000000009A44: 20686484
	v_add_u32_e32 v51, v52, v51                                // 000000009A48: 68666734
	v_and_b32_e32 v50, 15, v0                                  // 000000009A4C: 2664008F
	v_lshlrev_b32_e32 v50, 1, v50                              // 000000009A50: 24646481
	v_add_u32_e32 v51, v50, v51                                // 000000009A54: 68666732
	v_lshlrev_b32_e32 v50, 2, v51                              // 000000009A58: 24646682
	s_mul_i32 s60, 0x100, s7                                   // 000000009A5C: 923C07FF 00000100
	v_add_u32_e64 v50, v50, s60                                // 000000009A64: D1340032 00007932
	ds_write_b32 v50, v128 offset:18688                        // 000000009A6C: D81A4900 00008032
	ds_write_b32 v50, v129 offset:24832                        // 000000009A74: D81A6100 00008132
	ds_write_b32 v50, v130 offset:19712                        // 000000009A7C: D81A4D00 00008232
	ds_write_b32 v50, v131 offset:25856                        // 000000009A84: D81A6500 00008332
	ds_write_b32 v50, v132 offset:20736                        // 000000009A8C: D81A5100 00008432
	ds_write_b32 v50, v133 offset:26880                        // 000000009A94: D81A6900 00008532
	ds_write_b32 v50, v134 offset:21760                        // 000000009A9C: D81A5500 00008632
	ds_write_b32 v50, v135 offset:27904                        // 000000009AA4: D81A6D00 00008732
	ds_write_b32 v50, v136 offset:22784                        // 000000009AAC: D81A5900 00008832
	ds_write_b32 v50, v137 offset:28928                        // 000000009AB4: D81A7100 00008932
	ds_write_b32 v50, v138 offset:23808                        // 000000009ABC: D81A5D00 00008A32
	ds_write_b32 v50, v139 offset:29952                        // 000000009AC4: D81A7500 00008B32
	s_waitcnt lgkmcnt(0)                                       // 000000009ACC: BF8CC07F
	s_barrier                                                  // 000000009AD0: BF8A0000
	v_lshrrev_b32_e32 v50, 4, v0                               // 000000009AD4: 20640084
	v_lshlrev_b32_e32 v51, 6, v50                              // 000000009AD8: 24666486
	v_and_b32_e32 v50, 15, v0                                  // 000000009ADC: 2664008F
	v_lshlrev_b32_e32 v50, 1, v50                              // 000000009AE0: 24646481
	v_add_u32_e32 v51, v50, v51                                // 000000009AE4: 68666732
	v_lshlrev_b32_e32 v50, 2, v51                              // 000000009AE8: 24646682
	ds_read_b64 v[128:129], v50 offset:18688                   // 000000009AEC: D8EC4900 80000032
	ds_read_b64 v[130:131], v50 offset:18816                   // 000000009AF4: D8EC4980 82000032
	ds_read_b64 v[132:133], v50 offset:19712                   // 000000009AFC: D8EC4D00 84000032
	ds_read_b64 v[134:135], v50 offset:19840                   // 000000009B04: D8EC4D80 86000032
	ds_read_b64 v[136:137], v50 offset:20736                   // 000000009B0C: D8EC5100 88000032
	ds_read_b64 v[138:139], v50 offset:20864                   // 000000009B14: D8EC5180 8A000032
	ds_read_b64 v[140:141], v50 offset:21760                   // 000000009B1C: D8EC5500 8C000032
	ds_read_b64 v[142:143], v50 offset:21888                   // 000000009B24: D8EC5580 8E000032
	ds_read_b64 v[144:145], v50 offset:22784                   // 000000009B2C: D8EC5900 90000032
	ds_read_b64 v[146:147], v50 offset:22912                   // 000000009B34: D8EC5980 92000032
	ds_read_b64 v[148:149], v50 offset:23808                   // 000000009B3C: D8EC5D00 94000032
	ds_read_b64 v[150:151], v50 offset:23936                   // 000000009B44: D8EC5D80 96000032
	ds_read_b64 v[152:153], v50 offset:24832                   // 000000009B4C: D8EC6100 98000032
	ds_read_b64 v[154:155], v50 offset:24960                   // 000000009B54: D8EC6180 9A000032
	ds_read_b64 v[156:157], v50 offset:25856                   // 000000009B5C: D8EC6500 9C000032
	ds_read_b64 v[158:159], v50 offset:25984                   // 000000009B64: D8EC6580 9E000032
	ds_read_b64 v[160:161], v50 offset:26880                   // 000000009B6C: D8EC6900 A0000032
	ds_read_b64 v[162:163], v50 offset:27008                   // 000000009B74: D8EC6980 A2000032
	ds_read_b64 v[164:165], v50 offset:27904                   // 000000009B7C: D8EC6D00 A4000032
	ds_read_b64 v[166:167], v50 offset:28032                   // 000000009B84: D8EC6D80 A6000032
	ds_read_b64 v[168:169], v50 offset:28928                   // 000000009B8C: D8EC7100 A8000032
	ds_read_b64 v[170:171], v50 offset:29056                   // 000000009B94: D8EC7180 AA000032
	ds_read_b64 v[172:173], v50 offset:29952                   // 000000009B9C: D8EC7500 AC000032
	ds_read_b64 v[174:175], v50 offset:30080                   // 000000009BA4: D8EC7580 AE000032
	s_add_u32 s12, s56, s12                                    // 000000009BAC: 800C0C38
	s_addc_u32 s13, 0, s13                                     // 000000009BB0: 820D0D80
	s_add_u32 s16, s79, s16                                    // 000000009BB4: 8010104F
	s_addc_u32 s17, 0, s17                                     // 000000009BB8: 82111180
	s_waitcnt lgkmcnt(0)                                       // 000000009BBC: BF8CC07F
	s_barrier                                                  // 000000009BC0: BF8A0000
	v_mov_b32_e32 v176, 0                                      // 000000009BC4: 7F600280
	v_mov_b32_e32 v208, 0                                      // 000000009BC8: 7FA00280
	v_mov_b32_e32 v177, 0                                      // 000000009BCC: 7F620280
	v_mov_b32_e32 v209, 0                                      // 000000009BD0: 7FA20280
	v_mov_b32_e32 v178, 0                                      // 000000009BD4: 7F640280
	v_mov_b32_e32 v210, 0                                      // 000000009BD8: 7FA40280
	v_mov_b32_e32 v179, 0                                      // 000000009BDC: 7F660280
	v_mov_b32_e32 v211, 0                                      // 000000009BE0: 7FA60280
	v_mov_b32_e32 v180, 0                                      // 000000009BE4: 7F680280
	v_mov_b32_e32 v212, 0                                      // 000000009BE8: 7FA80280
	v_mov_b32_e32 v181, 0                                      // 000000009BEC: 7F6A0280
	v_mov_b32_e32 v213, 0                                      // 000000009BF0: 7FAA0280
	v_mov_b32_e32 v182, 0                                      // 000000009BF4: 7F6C0280
	v_mov_b32_e32 v214, 0                                      // 000000009BF8: 7FAC0280
	v_mov_b32_e32 v183, 0                                      // 000000009BFC: 7F6E0280
	v_mov_b32_e32 v215, 0                                      // 000000009C00: 7FAE0280
	v_mov_b32_e32 v184, 0                                      // 000000009C04: 7F700280
	v_mov_b32_e32 v216, 0                                      // 000000009C08: 7FB00280
	v_mov_b32_e32 v185, 0                                      // 000000009C0C: 7F720280
	v_mov_b32_e32 v217, 0                                      // 000000009C10: 7FB20280
	v_mov_b32_e32 v186, 0                                      // 000000009C14: 7F740280
	v_mov_b32_e32 v218, 0                                      // 000000009C18: 7FB40280
	v_mov_b32_e32 v187, 0                                      // 000000009C1C: 7F760280
	v_mov_b32_e32 v219, 0                                      // 000000009C20: 7FB60280
	v_mov_b32_e32 v188, 0                                      // 000000009C24: 7F780280
	v_mov_b32_e32 v220, 0                                      // 000000009C28: 7FB80280
	v_mov_b32_e32 v189, 0                                      // 000000009C2C: 7F7A0280
	v_mov_b32_e32 v221, 0                                      // 000000009C30: 7FBA0280
	v_mov_b32_e32 v190, 0                                      // 000000009C34: 7F7C0280
	v_mov_b32_e32 v222, 0                                      // 000000009C38: 7FBC0280
	v_mov_b32_e32 v191, 0                                      // 000000009C3C: 7F7E0280
	v_mov_b32_e32 v223, 0                                      // 000000009C40: 7FBE0280
	ds_write_b64 v3, v[176:177] offset:18688                   // 000000009C44: D89A4900 0000B003
	ds_write_b64 v3, v[178:179] offset:27392                   // 000000009C4C: D89A6B00 0000B203
	ds_write_b64 v3, v[180:181] offset:20864                   // 000000009C54: D89A5180 0000B403
	ds_write_b64 v3, v[182:183] offset:29568                   // 000000009C5C: D89A7380 0000B603
	ds_write_b64 v3, v[184:185] offset:23040                   // 000000009C64: D89A5A00 0000B803
	ds_write_b64 v3, v[186:187] offset:31744                   // 000000009C6C: D89A7C00 0000BA03
	ds_write_b64 v3, v[188:189] offset:25216                   // 000000009C74: D89A6280 0000BC03
	ds_write_b64 v3, v[190:191] offset:33920                   // 000000009C7C: D89A8480 0000BE03
	s_mov_b32 s80, 0                                           // 000000009C84: BED00080
	s_waitcnt vmcnt(0) expcnt(0) lgkmcnt(0)                    // 000000009C88: BF8C0000

0000000000009c8c <label_1BA3>:
	s_waitcnt vmcnt(21) lgkmcnt(0)                             // 000000009C8C: BF8C4075
	s_barrier                                                  // 000000009C90: BF8A0000
	v_mfma_f32_16x16x32_fp8_fp8 v[176:179], a[0:1], v[128:129], 0// 000000009C94: D3F300B0 0A030100
	buffer_load_dwordx4 a[96:99], v40, s[12:15], 0 offen       // 000000009C9C: E05C1000 80836028
	v_mfma_f32_16x16x32_fp8_fp8 v[176:179], a[2:3], v[130:131], v[176:179]// 000000009CA4: D3F300B0 0EC30502
	ds_read_b32 v64, v4 offset:18688                           // 000000009CAC: D86C4900 40000004
	ds_read_b32 v65, v4 offset:23040                           // 000000009CB4: D86C5A00 41000004
	v_mfma_f32_16x16x32_fp8_fp8 v[180:183], a[0:1], v[152:153], 0// 000000009CBC: D3F300B4 0A033100
	v_mfma_f32_16x16x32_fp8_fp8 v[180:183], a[2:3], v[154:155], v[180:183]// 000000009CC4: D3F300B4 0ED33502
	ds_read_b32 v66, v4 offset:18720                           // 000000009CCC: D86C4920 42000004
	ds_read_b32 v67, v4 offset:23072                           // 000000009CD4: D86C5A20 43000004
	v_mfma_f32_16x16x32_fp8_fp8 v[184:187], a[4:5], v[128:129], 0// 000000009CDC: D3F300B8 0A030104
	buffer_load_dwordx4 a[100:103], v41, s[12:15], 0 offen     // 000000009CE4: E05C1000 80836429
	v_mfma_f32_16x16x32_fp8_fp8 v[184:187], a[6:7], v[130:131], v[184:187]// 000000009CEC: D3F300B8 0EE30506
	ds_read_b32 v68, v4 offset:18752                           // 000000009CF4: D86C4940 44000004
	ds_read_b32 v69, v4 offset:23104                           // 000000009CFC: D86C5A40 45000004
	v_mfma_f32_16x16x32_fp8_fp8 v[188:191], a[4:5], v[152:153], 0// 000000009D04: D3F300BC 0A033104
	v_mfma_f32_16x16x32_fp8_fp8 v[188:191], a[6:7], v[154:155], v[188:191]// 000000009D0C: D3F300BC 0EF33506
	ds_read_b32 v70, v4 offset:18784                           // 000000009D14: D86C4960 46000004
	ds_read_b32 v71, v4 offset:23136                           // 000000009D1C: D86C5A60 47000004
	v_mfma_f32_16x16x32_fp8_fp8 v[192:195], a[8:9], v[128:129], 0// 000000009D24: D3F300C0 0A030108
	buffer_load_dwordx4 a[104:107], v42, s[12:15], 0 offen     // 000000009D2C: E05C1000 8083682A
	v_mfma_f32_16x16x32_fp8_fp8 v[192:195], a[10:11], v[130:131], v[192:195]// 000000009D34: D3F300C0 0F03050A
	ds_read_b32 v72, v4 offset:27392                           // 000000009D3C: D86C6B00 48000004
	ds_read_b32 v73, v4 offset:31744                           // 000000009D44: D86C7C00 49000004
	v_mfma_f32_16x16x32_fp8_fp8 v[196:199], a[8:9], v[152:153], 0// 000000009D4C: D3F300C4 0A033108
	v_mfma_f32_16x16x32_fp8_fp8 v[196:199], a[10:11], v[154:155], v[196:199]// 000000009D54: D3F300C4 0F13350A
	ds_read_b32 v74, v4 offset:27424                           // 000000009D5C: D86C6B20 4A000004
	ds_read_b32 v75, v4 offset:31776                           // 000000009D64: D86C7C20 4B000004
	v_mfma_f32_16x16x32_fp8_fp8 v[200:203], a[12:13], v[128:129], 0// 000000009D6C: D3F300C8 0A03010C
	buffer_load_dwordx4 a[108:111], v43, s[12:15], 0 offen     // 000000009D74: E05C1000 80836C2B
	s_add_u32 s12, s78, s12                                    // 000000009D7C: 800C0C4E
	s_addc_u32 s13, 0, s13                                     // 000000009D80: 820D0D80
	v_mfma_f32_16x16x32_fp8_fp8 v[200:203], a[14:15], v[130:131], v[200:203]// 000000009D84: D3F300C8 0F23050E
	ds_read_b32 v76, v4 offset:27456                           // 000000009D8C: D86C6B40 4C000004
	ds_read_b32 v77, v4 offset:31808                           // 000000009D94: D86C7C40 4D000004
	v_mfma_f32_16x16x32_fp8_fp8 v[204:207], a[12:13], v[152:153], 0// 000000009D9C: D3F300CC 0A03310C
	v_mfma_f32_16x16x32_fp8_fp8 v[204:207], a[14:15], v[154:155], v[204:207]// 000000009DA4: D3F300CC 0F33350E
	ds_read_b32 v78, v4 offset:27488                           // 000000009DAC: D86C6B60 4E000004
	ds_read_b32 v79, v4 offset:31840                           // 000000009DB4: D86C7C60 4F000004
	s_waitcnt vmcnt(21)                                        // 000000009DBC: BF8C4F75
	v_mfma_f32_16x16x32_fp8_fp8 v[176:179], a[16:17], v[132:133], v[176:179]// 000000009DC0: D3F300B0 0EC30910
	buffer_load_dwordx4 a[112:115], v40, s[12:15], 0 offen     // 000000009DC8: E05C1000 80837028
	v_mfma_f32_16x16x32_fp8_fp8 v[176:179], a[18:19], v[134:135], v[176:179]// 000000009DD0: D3F300B0 0EC30D12
	v_mfma_f32_16x16x32_fp8_fp8 v[180:183], a[16:17], v[156:157], v[180:183]// 000000009DD8: D3F300B4 0ED33910
	v_mfma_f32_16x16x32_fp8_fp8 v[180:183], a[18:19], v[158:159], v[180:183]// 000000009DE0: D3F300B4 0ED33D12
	v_mfma_f32_16x16x32_fp8_fp8 v[184:187], a[20:21], v[132:133], v[184:187]// 000000009DE8: D3F300B8 0EE30914
	buffer_load_dwordx4 a[116:119], v41, s[12:15], 0 offen     // 000000009DF0: E05C1000 80837429
	v_mfma_f32_16x16x32_fp8_fp8 v[184:187], a[22:23], v[134:135], v[184:187]// 000000009DF8: D3F300B8 0EE30D16
	v_mfma_f32_16x16x32_fp8_fp8 v[188:191], a[20:21], v[156:157], v[188:191]// 000000009E00: D3F300BC 0EF33914
	v_mfma_f32_16x16x32_fp8_fp8 v[188:191], a[22:23], v[158:159], v[188:191]// 000000009E08: D3F300BC 0EF33D16
	v_mfma_f32_16x16x32_fp8_fp8 v[192:195], a[24:25], v[132:133], v[192:195]// 000000009E10: D3F300C0 0F030918
	buffer_load_dwordx4 a[120:123], v42, s[12:15], 0 offen     // 000000009E18: E05C1000 8083782A
	v_mfma_f32_16x16x32_fp8_fp8 v[192:195], a[26:27], v[134:135], v[192:195]// 000000009E20: D3F300C0 0F030D1A
	v_mfma_f32_16x16x32_fp8_fp8 v[196:199], a[24:25], v[156:157], v[196:199]// 000000009E28: D3F300C4 0F133918
	v_mfma_f32_16x16x32_fp8_fp8 v[196:199], a[26:27], v[158:159], v[196:199]// 000000009E30: D3F300C4 0F133D1A
	v_mfma_f32_16x16x32_fp8_fp8 v[200:203], a[28:29], v[132:133], v[200:203]// 000000009E38: D3F300C8 0F23091C
	buffer_load_dwordx4 a[124:127], v43, s[12:15], 0 offen     // 000000009E40: E05C1000 80837C2B
	s_add_u32 s12, s78, s12                                    // 000000009E48: 800C0C4E
	s_addc_u32 s13, 0, s13                                     // 000000009E4C: 820D0D80
	v_mfma_f32_16x16x32_fp8_fp8 v[200:203], a[30:31], v[134:135], v[200:203]// 000000009E50: D3F300C8 0F230D1E
	v_mfma_f32_16x16x32_fp8_fp8 v[204:207], a[28:29], v[156:157], v[204:207]// 000000009E58: D3F300CC 0F33391C
	v_mfma_f32_16x16x32_fp8_fp8 v[204:207], a[30:31], v[158:159], v[204:207]// 000000009E60: D3F300CC 0F333D1E
	s_waitcnt vmcnt(21)                                        // 000000009E68: BF8C4F75
	v_mfma_f32_16x16x32_fp8_fp8 v[176:179], a[32:33], v[136:137], v[176:179]// 000000009E6C: D3F300B0 0EC31120
	buffer_load_dwordx4 a[128:131], v40, s[12:15], 0 offen     // 000000009E74: E05C1000 80838028
	v_mfma_f32_16x16x32_fp8_fp8 v[176:179], a[34:35], v[138:139], v[176:179]// 000000009E7C: D3F300B0 0EC31522
	ds_write_b64 v3, v[208:209] offset:36096                   // 000000009E84: D89A8D00 0000D003
	v_mfma_f32_16x16x32_fp8_fp8 v[180:183], a[32:33], v[160:161], v[180:183]// 000000009E8C: D3F300B4 0ED34120
	v_mfma_f32_16x16x32_fp8_fp8 v[180:183], a[34:35], v[162:163], v[180:183]// 000000009E94: D3F300B4 0ED34522
	ds_write_b64 v3, v[210:211] offset:44800                   // 000000009E9C: D89AAF00 0000D203
	v_mfma_f32_16x16x32_fp8_fp8 v[184:187], a[36:37], v[136:137], v[184:187]// 000000009EA4: D3F300B8 0EE31124
	buffer_load_dwordx4 a[132:135], v41, s[12:15], 0 offen     // 000000009EAC: E05C1000 80838429
	v_mfma_f32_16x16x32_fp8_fp8 v[184:187], a[38:39], v[138:139], v[184:187]// 000000009EB4: D3F300B8 0EE31526
	ds_write_b64 v3, v[212:213] offset:38272                   // 000000009EBC: D89A9580 0000D403
	v_mfma_f32_16x16x32_fp8_fp8 v[188:191], a[36:37], v[160:161], v[188:191]// 000000009EC4: D3F300BC 0EF34124
	v_mfma_f32_16x16x32_fp8_fp8 v[188:191], a[38:39], v[162:163], v[188:191]// 000000009ECC: D3F300BC 0EF34526
	ds_write_b64 v3, v[214:215] offset:46976                   // 000000009ED4: D89AB780 0000D603
	v_mfma_f32_16x16x32_fp8_fp8 v[192:195], a[40:41], v[136:137], v[192:195]// 000000009EDC: D3F300C0 0F031128
	buffer_load_dwordx4 a[136:139], v42, s[12:15], 0 offen     // 000000009EE4: E05C1000 8083882A
	v_mfma_f32_16x16x32_fp8_fp8 v[192:195], a[42:43], v[138:139], v[192:195]// 000000009EEC: D3F300C0 0F03152A
	ds_write_b64 v3, v[216:217] offset:40448                   // 000000009EF4: D89A9E00 0000D803
	v_mfma_f32_16x16x32_fp8_fp8 v[196:199], a[40:41], v[160:161], v[196:199]// 000000009EFC: D3F300C4 0F134128
	v_mfma_f32_16x16x32_fp8_fp8 v[196:199], a[42:43], v[162:163], v[196:199]// 000000009F04: D3F300C4 0F13452A
	ds_write_b64 v3, v[218:219] offset:49152                   // 000000009F0C: D89AC000 0000DA03
	v_mfma_f32_16x16x32_fp8_fp8 v[200:203], a[44:45], v[136:137], v[200:203]// 000000009F14: D3F300C8 0F23112C
	buffer_load_dwordx4 a[140:143], v43, s[12:15], 0 offen     // 000000009F1C: E05C1000 80838C2B
	s_add_u32 s12, s78, s12                                    // 000000009F24: 800C0C4E
	s_addc_u32 s13, 0, s13                                     // 000000009F28: 820D0D80
	v_mfma_f32_16x16x32_fp8_fp8 v[200:203], a[46:47], v[138:139], v[200:203]// 000000009F2C: D3F300C8 0F23152E
	ds_write_b64 v3, v[220:221] offset:42624                   // 000000009F34: D89AA680 0000DC03
	v_mfma_f32_16x16x32_fp8_fp8 v[204:207], a[44:45], v[160:161], v[204:207]// 000000009F3C: D3F300CC 0F33412C
	v_mfma_f32_16x16x32_fp8_fp8 v[204:207], a[46:47], v[162:163], v[204:207]// 000000009F44: D3F300CC 0F33452E
	ds_write_b64 v3, v[222:223] offset:51328                   // 000000009F4C: D89AC880 0000DE03
	s_waitcnt vmcnt(21)                                        // 000000009F54: BF8C4F75
	v_mfma_f32_16x16x32_fp8_fp8 v[176:179], a[48:49], v[140:141], v[176:179]// 000000009F58: D3F300B0 0EC31930
	buffer_load_dwordx4 a[144:147], v40, s[12:15], 0 offen     // 000000009F60: E05C1000 80839028
	v_mfma_f32_16x16x32_fp8_fp8 v[176:179], a[50:51], v[142:143], v[176:179]// 000000009F68: D3F300B0 0EC31D32
	v_mfma_f32_16x16x32_fp8_fp8 v[180:183], a[48:49], v[164:165], v[180:183]// 000000009F70: D3F300B4 0ED34930
	v_mfma_f32_16x16x32_fp8_fp8 v[180:183], a[50:51], v[166:167], v[180:183]// 000000009F78: D3F300B4 0ED34D32
	v_mfma_f32_16x16x32_fp8_fp8 v[184:187], a[52:53], v[140:141], v[184:187]// 000000009F80: D3F300B8 0EE31934
	buffer_load_dwordx4 a[148:151], v41, s[12:15], 0 offen     // 000000009F88: E05C1000 80839429
	v_mfma_f32_16x16x32_fp8_fp8 v[184:187], a[54:55], v[142:143], v[184:187]// 000000009F90: D3F300B8 0EE31D36
	v_mfma_f32_16x16x32_fp8_fp8 v[188:191], a[52:53], v[164:165], v[188:191]// 000000009F98: D3F300BC 0EF34934
	v_mfma_f32_16x16x32_fp8_fp8 v[188:191], a[54:55], v[166:167], v[188:191]// 000000009FA0: D3F300BC 0EF34D36
	v_mfma_f32_16x16x32_fp8_fp8 v[192:195], a[56:57], v[140:141], v[192:195]// 000000009FA8: D3F300C0 0F031938
	buffer_load_dwordx4 a[152:155], v42, s[12:15], 0 offen     // 000000009FB0: E05C1000 8083982A
	v_mfma_f32_16x16x32_fp8_fp8 v[192:195], a[58:59], v[142:143], v[192:195]// 000000009FB8: D3F300C0 0F031D3A
	v_mfma_f32_16x16x32_fp8_fp8 v[196:199], a[56:57], v[164:165], v[196:199]// 000000009FC0: D3F300C4 0F134938
	v_mfma_f32_16x16x32_fp8_fp8 v[196:199], a[58:59], v[166:167], v[196:199]// 000000009FC8: D3F300C4 0F134D3A
	v_mfma_f32_16x16x32_fp8_fp8 v[200:203], a[60:61], v[140:141], v[200:203]// 000000009FD0: D3F300C8 0F23193C
	buffer_load_dwordx4 a[156:159], v43, s[12:15], 0 offen     // 000000009FD8: E05C1000 80839C2B
	s_add_u32 s12, s78, s12                                    // 000000009FE0: 800C0C4E
	s_addc_u32 s13, 0, s13                                     // 000000009FE4: 820D0D80
	v_mfma_f32_16x16x32_fp8_fp8 v[200:203], a[62:63], v[142:143], v[200:203]// 000000009FE8: D3F300C8 0F231D3E
	v_mfma_f32_16x16x32_fp8_fp8 v[204:207], a[60:61], v[164:165], v[204:207]// 000000009FF0: D3F300CC 0F33493C
	v_mfma_f32_16x16x32_fp8_fp8 v[204:207], a[62:63], v[166:167], v[204:207]// 000000009FF8: D3F300CC 0F334D3E
	s_waitcnt vmcnt(21)                                        // 00000000A000: BF8C4F75
	v_mfma_f32_16x16x32_fp8_fp8 v[176:179], a[64:65], v[144:145], v[176:179]// 00000000A004: D3F300B0 0EC32140
	buffer_load_dwordx4 a[160:163], v40, s[12:15], 0 offen     // 00000000A00C: E05C1000 8083A028
	v_mfma_f32_16x16x32_fp8_fp8 v[176:179], a[66:67], v[146:147], v[176:179]// 00000000A014: D3F300B0 0EC32542
	v_mfma_f32_16x16x32_fp8_fp8 v[180:183], a[64:65], v[168:169], v[180:183]// 00000000A01C: D3F300B4 0ED35140
	v_mfma_f32_16x16x32_fp8_fp8 v[180:183], a[66:67], v[170:171], v[180:183]// 00000000A024: D3F300B4 0ED35542
	v_mfma_f32_16x16x32_fp8_fp8 v[184:187], a[68:69], v[144:145], v[184:187]// 00000000A02C: D3F300B8 0EE32144
	buffer_load_dwordx4 a[164:167], v41, s[12:15], 0 offen     // 00000000A034: E05C1000 8083A429
	v_mfma_f32_16x16x32_fp8_fp8 v[184:187], a[70:71], v[146:147], v[184:187]// 00000000A03C: D3F300B8 0EE32546
	v_mfma_f32_16x16x32_fp8_fp8 v[188:191], a[68:69], v[168:169], v[188:191]// 00000000A044: D3F300BC 0EF35144
	v_mfma_f32_16x16x32_fp8_fp8 v[188:191], a[70:71], v[170:171], v[188:191]// 00000000A04C: D3F300BC 0EF35546
	v_mfma_f32_16x16x32_fp8_fp8 v[192:195], a[72:73], v[144:145], v[192:195]// 00000000A054: D3F300C0 0F032148
	buffer_load_dwordx4 a[168:171], v42, s[12:15], 0 offen     // 00000000A05C: E05C1000 8083A82A
	v_mfma_f32_16x16x32_fp8_fp8 v[192:195], a[74:75], v[146:147], v[192:195]// 00000000A064: D3F300C0 0F03254A
	v_mfma_f32_16x16x32_fp8_fp8 v[196:199], a[72:73], v[168:169], v[196:199]// 00000000A06C: D3F300C4 0F135148
	v_mfma_f32_16x16x32_fp8_fp8 v[196:199], a[74:75], v[170:171], v[196:199]// 00000000A074: D3F300C4 0F13554A
	v_mfma_f32_16x16x32_fp8_fp8 v[200:203], a[76:77], v[144:145], v[200:203]// 00000000A07C: D3F300C8 0F23214C
	buffer_load_dwordx4 a[172:175], v43, s[12:15], 0 offen     // 00000000A084: E05C1000 8083AC2B
	s_add_u32 s12, s78, s12                                    // 00000000A08C: 800C0C4E
	s_addc_u32 s13, 0, s13                                     // 00000000A090: 820D0D80
	v_mfma_f32_16x16x32_fp8_fp8 v[200:203], a[78:79], v[146:147], v[200:203]// 00000000A094: D3F300C8 0F23254E
	v_mfma_f32_16x16x32_fp8_fp8 v[204:207], a[76:77], v[168:169], v[204:207]// 00000000A09C: D3F300CC 0F33514C
	v_mfma_f32_16x16x32_fp8_fp8 v[204:207], a[78:79], v[170:171], v[204:207]// 00000000A0A4: D3F300CC 0F33554E
	s_waitcnt vmcnt(20)                                        // 00000000A0AC: BF8C4F74
	v_mfma_f32_16x16x32_fp8_fp8 v[176:179], a[80:81], v[148:149], v[176:179]// 00000000A0B0: D3F300B0 0EC32950
	buffer_load_dwordx4 a[176:179], v40, s[12:15], 0 offen     // 00000000A0B8: E05C1000 8083B028
	v_mfma_f32_16x16x32_fp8_fp8 v[176:179], a[82:83], v[150:151], v[176:179]// 00000000A0C0: D3F300B0 0EC32D52
	v_mfma_f32_16x16x32_fp8_fp8 v[180:183], a[80:81], v[172:173], v[180:183]// 00000000A0C8: D3F300B4 0ED35950
	buffer_load_dword v13, v5, s[16:19], 0 offen               // 00000000A0D0: E0501000 80040D05
	v_mfma_f32_16x16x32_fp8_fp8 v[180:183], a[82:83], v[174:175], v[180:183]// 00000000A0D8: D3F300B4 0ED35D52
	v_mfma_f32_16x16x32_fp8_fp8 v[184:187], a[84:85], v[148:149], v[184:187]// 00000000A0E0: D3F300B8 0EE32954
	buffer_load_dwordx4 a[180:183], v41, s[12:15], 0 offen     // 00000000A0E8: E05C1000 8083B429
	v_mfma_f32_16x16x32_fp8_fp8 v[184:187], a[86:87], v[150:151], v[184:187]// 00000000A0F0: D3F300B8 0EE32D56
	v_mfma_f32_16x16x32_fp8_fp8 v[188:191], a[84:85], v[172:173], v[188:191]// 00000000A0F8: D3F300BC 0EF35954
	v_mfma_f32_16x16x32_fp8_fp8 v[188:191], a[86:87], v[174:175], v[188:191]// 00000000A100: D3F300BC 0EF35D56
	v_mfma_f32_16x16x32_fp8_fp8 v[192:195], a[88:89], v[148:149], v[192:195]// 00000000A108: D3F300C0 0F032958
	buffer_load_dwordx4 a[184:187], v42, s[12:15], 0 offen     // 00000000A110: E05C1000 8083B82A
	v_mfma_f32_16x16x32_fp8_fp8 v[192:195], a[90:91], v[150:151], v[192:195]// 00000000A118: D3F300C0 0F032D5A
	v_mfma_f32_16x16x32_fp8_fp8 v[196:199], a[88:89], v[172:173], v[196:199]// 00000000A120: D3F300C4 0F135958
	v_mfma_f32_16x16x32_fp8_fp8 v[196:199], a[90:91], v[174:175], v[196:199]// 00000000A128: D3F300C4 0F135D5A
	v_mfma_f32_16x16x32_fp8_fp8 v[200:203], a[92:93], v[148:149], v[200:203]// 00000000A130: D3F300C8 0F23295C
	buffer_load_dwordx4 a[188:191], v43, s[12:15], 0 offen     // 00000000A138: E05C1000 8083BC2B
	v_mfma_f32_16x16x32_fp8_fp8 v[200:203], a[94:95], v[150:151], v[200:203]// 00000000A140: D3F300C8 0F232D5E
	v_mfma_f32_16x16x32_fp8_fp8 v[204:207], a[92:93], v[172:173], v[204:207]// 00000000A148: D3F300CC 0F33595C
	v_mfma_f32_16x16x32_fp8_fp8 v[204:207], a[94:95], v[174:175], v[204:207]// 00000000A150: D3F300CC 0F335D5E
	s_add_u32 s60, 0x200, s80                                  // 00000000A158: 803C50FF 00000200
	s_cmp_lt_u32 s60, s81                                      // 00000000A160: BF0A513C
	s_cselect_b32 s56, s56, 0                                  // 00000000A164: 85388038
	s_cselect_b32 s78, s78, 0                                  // 00000000A168: 854E804E
	s_cselect_b32 s79, s79, 0                                  // 00000000A16C: 854F804F
	s_add_u32 s12, s56, s12                                    // 00000000A170: 800C0C38
	s_addc_u32 s13, 0, s13                                     // 00000000A174: 820D0D80
	s_add_u32 s16, s79, s16                                    // 00000000A178: 8010104F
	s_addc_u32 s17, 0, s17                                     // 00000000A17C: 82111180
	v_mul_f32_e32 v176, v24, v176                              // 00000000A180: 0B616118
	v_mul_f32_e32 v177, v24, v177                              // 00000000A184: 0B636318
	v_mul_f32_e32 v178, v24, v178                              // 00000000A188: 0B656518
	v_mul_f32_e32 v179, v24, v179                              // 00000000A18C: 0B676718
	v_mul_f32_dpp v176, v12, v176 row_newbcast:0 row_mask:0xf bank_mask:0xf// 00000000A190: 0B6160FA FF01500C
	v_mul_f32_dpp v177, v12, v177 row_newbcast:1 row_mask:0xf bank_mask:0xf// 00000000A198: 0B6362FA FF01510C
	v_mul_f32_dpp v178, v12, v178 row_newbcast:2 row_mask:0xf bank_mask:0xf// 00000000A1A0: 0B6564FA FF01520C
	v_mul_f32_dpp v179, v12, v179 row_newbcast:3 row_mask:0xf bank_mask:0xf// 00000000A1A8: 0B6766FA FF01530C
	v_mul_f32_e32 v176, v20, v176                              // 00000000A1B0: 0B616114
	v_mul_f32_e32 v177, v20, v177                              // 00000000A1B4: 0B636314
	v_mul_f32_e32 v178, v20, v178                              // 00000000A1B8: 0B656514
	v_mul_f32_e32 v179, v20, v179                              // 00000000A1BC: 0B676714
	v_mul_f32_e32 v180, v25, v180                              // 00000000A1C0: 0B696919
	v_mul_f32_e32 v181, v25, v181                              // 00000000A1C4: 0B6B6B19
	v_mul_f32_e32 v182, v25, v182                              // 00000000A1C8: 0B6D6D19
	v_mul_f32_e32 v183, v25, v183                              // 00000000A1CC: 0B6F6F19
	v_mul_f32_dpp v180, v12, v180 row_newbcast:0 row_mask:0xf bank_mask:0xf// 00000000A1D0: 0B6968FA FF01500C
	v_mul_f32_dpp v181, v12, v181 row_newbcast:1 row_mask:0xf bank_mask:0xf// 00000000A1D8: 0B6B6AFA FF01510C
	v_mul_f32_dpp v182, v12, v182 row_newbcast:2 row_mask:0xf bank_mask:0xf// 00000000A1E0: 0B6D6CFA FF01520C
	v_mul_f32_dpp v183, v12, v183 row_newbcast:3 row_mask:0xf bank_mask:0xf// 00000000A1E8: 0B6F6EFA FF01530C
	v_mul_f32_e32 v180, v21, v180                              // 00000000A1F0: 0B696915
	v_mul_f32_e32 v181, v21, v181                              // 00000000A1F4: 0B6B6B15
	v_mul_f32_e32 v182, v21, v182                              // 00000000A1F8: 0B6D6D15
	v_mul_f32_e32 v183, v21, v183                              // 00000000A1FC: 0B6F6F15
	v_mul_f32_e32 v184, v24, v184                              // 00000000A200: 0B717118
	v_mul_f32_e32 v185, v24, v185                              // 00000000A204: 0B737318
	v_mul_f32_e32 v186, v24, v186                              // 00000000A208: 0B757518
	v_mul_f32_e32 v187, v24, v187                              // 00000000A20C: 0B777718
	v_mul_f32_dpp v184, v12, v184 row_newbcast:4 row_mask:0xf bank_mask:0xf// 00000000A210: 0B7170FA FF01540C
	v_mul_f32_dpp v185, v12, v185 row_newbcast:5 row_mask:0xf bank_mask:0xf// 00000000A218: 0B7372FA FF01550C
	v_mul_f32_dpp v186, v12, v186 row_newbcast:6 row_mask:0xf bank_mask:0xf// 00000000A220: 0B7574FA FF01560C
	v_mul_f32_dpp v187, v12, v187 row_newbcast:7 row_mask:0xf bank_mask:0xf// 00000000A228: 0B7776FA FF01570C
	v_mul_f32_e32 v184, v20, v184                              // 00000000A230: 0B717114
	v_mul_f32_e32 v185, v20, v185                              // 00000000A234: 0B737314
	v_mul_f32_e32 v186, v20, v186                              // 00000000A238: 0B757514
	v_mul_f32_e32 v187, v20, v187                              // 00000000A23C: 0B777714
	v_mul_f32_e32 v188, v25, v188                              // 00000000A240: 0B797919
	v_mul_f32_e32 v189, v25, v189                              // 00000000A244: 0B7B7B19
	v_mul_f32_e32 v190, v25, v190                              // 00000000A248: 0B7D7D19
	v_mul_f32_e32 v191, v25, v191                              // 00000000A24C: 0B7F7F19
	v_mul_f32_dpp v188, v12, v188 row_newbcast:4 row_mask:0xf bank_mask:0xf// 00000000A250: 0B7978FA FF01540C
	v_mul_f32_dpp v189, v12, v189 row_newbcast:5 row_mask:0xf bank_mask:0xf// 00000000A258: 0B7B7AFA FF01550C
	v_mul_f32_dpp v190, v12, v190 row_newbcast:6 row_mask:0xf bank_mask:0xf// 00000000A260: 0B7D7CFA FF01560C
	v_mul_f32_dpp v191, v12, v191 row_newbcast:7 row_mask:0xf bank_mask:0xf// 00000000A268: 0B7F7EFA FF01570C
	v_mul_f32_e32 v188, v21, v188                              // 00000000A270: 0B797915
	v_mul_f32_e32 v189, v21, v189                              // 00000000A274: 0B7B7B15
	v_mul_f32_e32 v190, v21, v190                              // 00000000A278: 0B7D7D15
	v_mul_f32_e32 v191, v21, v191                              // 00000000A27C: 0B7F7F15
	v_mul_f32_e32 v192, v24, v192                              // 00000000A280: 0B818118
	v_mul_f32_e32 v193, v24, v193                              // 00000000A284: 0B838318
	v_mul_f32_e32 v194, v24, v194                              // 00000000A288: 0B858518
	v_mul_f32_e32 v195, v24, v195                              // 00000000A28C: 0B878718
	v_mul_f32_dpp v192, v12, v192 row_newbcast:8 row_mask:0xf bank_mask:0xf// 00000000A290: 0B8180FA FF01580C
	v_mul_f32_dpp v193, v12, v193 row_newbcast:9 row_mask:0xf bank_mask:0xf// 00000000A298: 0B8382FA FF01590C
	v_mul_f32_dpp v194, v12, v194 row_newbcast:10 row_mask:0xf bank_mask:0xf// 00000000A2A0: 0B8584FA FF015A0C
	v_mul_f32_dpp v195, v12, v195 row_newbcast:11 row_mask:0xf bank_mask:0xf// 00000000A2A8: 0B8786FA FF015B0C
	v_mul_f32_e32 v192, v20, v192                              // 00000000A2B0: 0B818114
	v_mul_f32_e32 v193, v20, v193                              // 00000000A2B4: 0B838314
	v_mul_f32_e32 v194, v20, v194                              // 00000000A2B8: 0B858514
	v_mul_f32_e32 v195, v20, v195                              // 00000000A2BC: 0B878714
	v_mul_f32_e32 v196, v25, v196                              // 00000000A2C0: 0B898919
	v_mul_f32_e32 v197, v25, v197                              // 00000000A2C4: 0B8B8B19
	v_mul_f32_e32 v198, v25, v198                              // 00000000A2C8: 0B8D8D19
	v_mul_f32_e32 v199, v25, v199                              // 00000000A2CC: 0B8F8F19
	v_mul_f32_dpp v196, v12, v196 row_newbcast:8 row_mask:0xf bank_mask:0xf// 00000000A2D0: 0B8988FA FF01580C
	v_mul_f32_dpp v197, v12, v197 row_newbcast:9 row_mask:0xf bank_mask:0xf// 00000000A2D8: 0B8B8AFA FF01590C
	v_mul_f32_dpp v198, v12, v198 row_newbcast:10 row_mask:0xf bank_mask:0xf// 00000000A2E0: 0B8D8CFA FF015A0C
	v_mul_f32_dpp v199, v12, v199 row_newbcast:11 row_mask:0xf bank_mask:0xf// 00000000A2E8: 0B8F8EFA FF015B0C
	v_mul_f32_e32 v196, v21, v196                              // 00000000A2F0: 0B898915
	v_mul_f32_e32 v197, v21, v197                              // 00000000A2F4: 0B8B8B15
	v_mul_f32_e32 v198, v21, v198                              // 00000000A2F8: 0B8D8D15
	v_mul_f32_e32 v199, v21, v199                              // 00000000A2FC: 0B8F8F15
	v_mul_f32_e32 v200, v24, v200                              // 00000000A300: 0B919118
	v_mul_f32_e32 v201, v24, v201                              // 00000000A304: 0B939318
	v_mul_f32_e32 v202, v24, v202                              // 00000000A308: 0B959518
	v_mul_f32_e32 v203, v24, v203                              // 00000000A30C: 0B979718
	v_mul_f32_dpp v200, v12, v200 row_newbcast:12 row_mask:0xf bank_mask:0xf// 00000000A310: 0B9190FA FF015C0C
	v_mul_f32_dpp v201, v12, v201 row_newbcast:13 row_mask:0xf bank_mask:0xf// 00000000A318: 0B9392FA FF015D0C
	v_mul_f32_dpp v202, v12, v202 row_newbcast:14 row_mask:0xf bank_mask:0xf// 00000000A320: 0B9594FA FF015E0C
	v_mul_f32_dpp v203, v12, v203 row_newbcast:15 row_mask:0xf bank_mask:0xf// 00000000A328: 0B9796FA FF015F0C
	v_mul_f32_e32 v200, v20, v200                              // 00000000A330: 0B919114
	v_mul_f32_e32 v201, v20, v201                              // 00000000A334: 0B939314
	v_mul_f32_e32 v202, v20, v202                              // 00000000A338: 0B959514
	v_mul_f32_e32 v203, v20, v203                              // 00000000A33C: 0B979714
	v_mul_f32_e32 v204, v25, v204                              // 00000000A340: 0B999919
	v_mul_f32_e32 v205, v25, v205                              // 00000000A344: 0B9B9B19
	v_mul_f32_e32 v206, v25, v206                              // 00000000A348: 0B9D9D19
	v_mul_f32_e32 v207, v25, v207                              // 00000000A34C: 0B9F9F19
	v_mul_f32_dpp v204, v12, v204 row_newbcast:12 row_mask:0xf bank_mask:0xf// 00000000A350: 0B9998FA FF015C0C
	v_mul_f32_dpp v205, v12, v205 row_newbcast:13 row_mask:0xf bank_mask:0xf// 00000000A358: 0B9B9AFA FF015D0C
	v_mul_f32_dpp v206, v12, v206 row_newbcast:14 row_mask:0xf bank_mask:0xf// 00000000A360: 0B9D9CFA FF015E0C
	v_mul_f32_dpp v207, v12, v207 row_newbcast:15 row_mask:0xf bank_mask:0xf// 00000000A368: 0B9F9EFA FF015F0C
	v_mul_f32_e32 v204, v21, v204                              // 00000000A370: 0B999915
	v_mul_f32_e32 v205, v21, v205                              // 00000000A374: 0B9B9B15
	v_mul_f32_e32 v206, v21, v206                              // 00000000A378: 0B9D9D15
	v_mul_f32_e32 v207, v21, v207                              // 00000000A37C: 0B9F9F15
	v_cmp_u_f32_e64 s[48:49], v176, v176                       // 00000000A380: D0480030 000361B0
	v_add3_u32 v44, v176, v47, 1                               // 00000000A388: D1FF002C 02065FB0
	v_cndmask_b32_e64 v50, v44, v46, s[48:49]                  // 00000000A390: D1000032 00C25D2C
	v_cmp_u_f32_e64 s[48:49], v177, v177                       // 00000000A398: D0480030 000363B1
	v_add3_u32 v44, v177, v47, 1                               // 00000000A3A0: D1FF002C 02065FB1
	v_cndmask_b32_e64 v51, v44, v46, s[48:49]                  // 00000000A3A8: D1000033 00C25D2C
	v_perm_b32 v176, v51, v50, s52                             // 00000000A3B0: D1ED00B0 00D26533
	v_cmp_u_f32_e64 s[48:49], v178, v178                       // 00000000A3B8: D0480030 000365B2
	v_add3_u32 v44, v178, v47, 1                               // 00000000A3C0: D1FF002C 02065FB2
	v_cndmask_b32_e64 v50, v44, v46, s[48:49]                  // 00000000A3C8: D1000032 00C25D2C
	v_cmp_u_f32_e64 s[48:49], v179, v179                       // 00000000A3D0: D0480030 000367B3
	v_add3_u32 v44, v179, v47, 1                               // 00000000A3D8: D1FF002C 02065FB3
	v_cndmask_b32_e64 v51, v44, v46, s[48:49]                  // 00000000A3E0: D1000033 00C25D2C
	v_perm_b32 v177, v51, v50, s52                             // 00000000A3E8: D1ED00B1 00D26533
	v_cmp_u_f32_e64 s[48:49], v180, v180                       // 00000000A3F0: D0480030 000369B4
	v_add3_u32 v44, v180, v47, 1                               // 00000000A3F8: D1FF002C 02065FB4
	v_cndmask_b32_e64 v50, v44, v46, s[48:49]                  // 00000000A400: D1000032 00C25D2C
	v_cmp_u_f32_e64 s[48:49], v181, v181                       // 00000000A408: D0480030 00036BB5
	v_add3_u32 v44, v181, v47, 1                               // 00000000A410: D1FF002C 02065FB5
	v_cndmask_b32_e64 v51, v44, v46, s[48:49]                  // 00000000A418: D1000033 00C25D2C
	v_perm_b32 v178, v51, v50, s52                             // 00000000A420: D1ED00B2 00D26533
	v_cmp_u_f32_e64 s[48:49], v182, v182                       // 00000000A428: D0480030 00036DB6
	v_add3_u32 v44, v182, v47, 1                               // 00000000A430: D1FF002C 02065FB6
	v_cndmask_b32_e64 v50, v44, v46, s[48:49]                  // 00000000A438: D1000032 00C25D2C
	v_cmp_u_f32_e64 s[48:49], v183, v183                       // 00000000A440: D0480030 00036FB7
	v_add3_u32 v44, v183, v47, 1                               // 00000000A448: D1FF002C 02065FB7
	v_cndmask_b32_e64 v51, v44, v46, s[48:49]                  // 00000000A450: D1000033 00C25D2C
	v_perm_b32 v179, v51, v50, s52                             // 00000000A458: D1ED00B3 00D26533
	v_cmp_u_f32_e64 s[48:49], v184, v184                       // 00000000A460: D0480030 000371B8
	v_add3_u32 v44, v184, v47, 1                               // 00000000A468: D1FF002C 02065FB8
	v_cndmask_b32_e64 v50, v44, v46, s[48:49]                  // 00000000A470: D1000032 00C25D2C
	v_cmp_u_f32_e64 s[48:49], v185, v185                       // 00000000A478: D0480030 000373B9
	v_add3_u32 v44, v185, v47, 1                               // 00000000A480: D1FF002C 02065FB9
	v_cndmask_b32_e64 v51, v44, v46, s[48:49]                  // 00000000A488: D1000033 00C25D2C
	v_perm_b32 v180, v51, v50, s52                             // 00000000A490: D1ED00B4 00D26533
	v_cmp_u_f32_e64 s[48:49], v186, v186                       // 00000000A498: D0480030 000375BA
	v_add3_u32 v44, v186, v47, 1                               // 00000000A4A0: D1FF002C 02065FBA
	v_cndmask_b32_e64 v50, v44, v46, s[48:49]                  // 00000000A4A8: D1000032 00C25D2C
	v_cmp_u_f32_e64 s[48:49], v187, v187                       // 00000000A4B0: D0480030 000377BB
	v_add3_u32 v44, v187, v47, 1                               // 00000000A4B8: D1FF002C 02065FBB
	v_cndmask_b32_e64 v51, v44, v46, s[48:49]                  // 00000000A4C0: D1000033 00C25D2C
	v_perm_b32 v181, v51, v50, s52                             // 00000000A4C8: D1ED00B5 00D26533
	v_cmp_u_f32_e64 s[48:49], v188, v188                       // 00000000A4D0: D0480030 000379BC
	v_add3_u32 v44, v188, v47, 1                               // 00000000A4D8: D1FF002C 02065FBC
	v_cndmask_b32_e64 v50, v44, v46, s[48:49]                  // 00000000A4E0: D1000032 00C25D2C
	v_cmp_u_f32_e64 s[48:49], v189, v189                       // 00000000A4E8: D0480030 00037BBD
	v_add3_u32 v44, v189, v47, 1                               // 00000000A4F0: D1FF002C 02065FBD
	v_cndmask_b32_e64 v51, v44, v46, s[48:49]                  // 00000000A4F8: D1000033 00C25D2C
	v_perm_b32 v182, v51, v50, s52                             // 00000000A500: D1ED00B6 00D26533
	v_cmp_u_f32_e64 s[48:49], v190, v190                       // 00000000A508: D0480030 00037DBE
	v_add3_u32 v44, v190, v47, 1                               // 00000000A510: D1FF002C 02065FBE
	v_cndmask_b32_e64 v50, v44, v46, s[48:49]                  // 00000000A518: D1000032 00C25D2C
	v_cmp_u_f32_e64 s[48:49], v191, v191                       // 00000000A520: D0480030 00037FBF
	v_add3_u32 v44, v191, v47, 1                               // 00000000A528: D1FF002C 02065FBF
	v_cndmask_b32_e64 v51, v44, v46, s[48:49]                  // 00000000A530: D1000033 00C25D2C
	v_perm_b32 v183, v51, v50, s52                             // 00000000A538: D1ED00B7 00D26533
	v_cmp_u_f32_e64 s[48:49], v192, v192                       // 00000000A540: D0480030 000381C0
	v_add3_u32 v44, v192, v47, 1                               // 00000000A548: D1FF002C 02065FC0
	v_cndmask_b32_e64 v50, v44, v46, s[48:49]                  // 00000000A550: D1000032 00C25D2C
	v_cmp_u_f32_e64 s[48:49], v193, v193                       // 00000000A558: D0480030 000383C1
	v_add3_u32 v44, v193, v47, 1                               // 00000000A560: D1FF002C 02065FC1
	v_cndmask_b32_e64 v51, v44, v46, s[48:49]                  // 00000000A568: D1000033 00C25D2C
	v_perm_b32 v184, v51, v50, s52                             // 00000000A570: D1ED00B8 00D26533
	v_cmp_u_f32_e64 s[48:49], v194, v194                       // 00000000A578: D0480030 000385C2
	v_add3_u32 v44, v194, v47, 1                               // 00000000A580: D1FF002C 02065FC2
	v_cndmask_b32_e64 v50, v44, v46, s[48:49]                  // 00000000A588: D1000032 00C25D2C
	v_cmp_u_f32_e64 s[48:49], v195, v195                       // 00000000A590: D0480030 000387C3
	v_add3_u32 v44, v195, v47, 1                               // 00000000A598: D1FF002C 02065FC3
	v_cndmask_b32_e64 v51, v44, v46, s[48:49]                  // 00000000A5A0: D1000033 00C25D2C
	v_perm_b32 v185, v51, v50, s52                             // 00000000A5A8: D1ED00B9 00D26533
	v_cmp_u_f32_e64 s[48:49], v196, v196                       // 00000000A5B0: D0480030 000389C4
	v_add3_u32 v44, v196, v47, 1                               // 00000000A5B8: D1FF002C 02065FC4
	v_cndmask_b32_e64 v50, v44, v46, s[48:49]                  // 00000000A5C0: D1000032 00C25D2C
	v_cmp_u_f32_e64 s[48:49], v197, v197                       // 00000000A5C8: D0480030 00038BC5
	v_add3_u32 v44, v197, v47, 1                               // 00000000A5D0: D1FF002C 02065FC5
	v_cndmask_b32_e64 v51, v44, v46, s[48:49]                  // 00000000A5D8: D1000033 00C25D2C
	v_perm_b32 v186, v51, v50, s52                             // 00000000A5E0: D1ED00BA 00D26533
	v_cmp_u_f32_e64 s[48:49], v198, v198                       // 00000000A5E8: D0480030 00038DC6
	v_add3_u32 v44, v198, v47, 1                               // 00000000A5F0: D1FF002C 02065FC6
	v_cndmask_b32_e64 v50, v44, v46, s[48:49]                  // 00000000A5F8: D1000032 00C25D2C
	v_cmp_u_f32_e64 s[48:49], v199, v199                       // 00000000A600: D0480030 00038FC7
	v_add3_u32 v44, v199, v47, 1                               // 00000000A608: D1FF002C 02065FC7
	v_cndmask_b32_e64 v51, v44, v46, s[48:49]                  // 00000000A610: D1000033 00C25D2C
	v_perm_b32 v187, v51, v50, s52                             // 00000000A618: D1ED00BB 00D26533
	v_cmp_u_f32_e64 s[48:49], v200, v200                       // 00000000A620: D0480030 000391C8
	v_add3_u32 v44, v200, v47, 1                               // 00000000A628: D1FF002C 02065FC8
	v_cndmask_b32_e64 v50, v44, v46, s[48:49]                  // 00000000A630: D1000032 00C25D2C
	v_cmp_u_f32_e64 s[48:49], v201, v201                       // 00000000A638: D0480030 000393C9
	v_add3_u32 v44, v201, v47, 1                               // 00000000A640: D1FF002C 02065FC9
	v_cndmask_b32_e64 v51, v44, v46, s[48:49]                  // 00000000A648: D1000033 00C25D2C
	v_perm_b32 v188, v51, v50, s52                             // 00000000A650: D1ED00BC 00D26533
	v_cmp_u_f32_e64 s[48:49], v202, v202                       // 00000000A658: D0480030 000395CA
	v_add3_u32 v44, v202, v47, 1                               // 00000000A660: D1FF002C 02065FCA
	v_cndmask_b32_e64 v50, v44, v46, s[48:49]                  // 00000000A668: D1000032 00C25D2C
	v_cmp_u_f32_e64 s[48:49], v203, v203                       // 00000000A670: D0480030 000397CB
	v_add3_u32 v44, v203, v47, 1                               // 00000000A678: D1FF002C 02065FCB
	v_cndmask_b32_e64 v51, v44, v46, s[48:49]                  // 00000000A680: D1000033 00C25D2C
	v_perm_b32 v189, v51, v50, s52                             // 00000000A688: D1ED00BD 00D26533
	v_cmp_u_f32_e64 s[48:49], v204, v204                       // 00000000A690: D0480030 000399CC
	v_add3_u32 v44, v204, v47, 1                               // 00000000A698: D1FF002C 02065FCC
	v_cndmask_b32_e64 v50, v44, v46, s[48:49]                  // 00000000A6A0: D1000032 00C25D2C
	v_cmp_u_f32_e64 s[48:49], v205, v205                       // 00000000A6A8: D0480030 00039BCD
	v_add3_u32 v44, v205, v47, 1                               // 00000000A6B0: D1FF002C 02065FCD
	v_cndmask_b32_e64 v51, v44, v46, s[48:49]                  // 00000000A6B8: D1000033 00C25D2C
	v_perm_b32 v190, v51, v50, s52                             // 00000000A6C0: D1ED00BE 00D26533
	v_cmp_u_f32_e64 s[48:49], v206, v206                       // 00000000A6C8: D0480030 00039DCE
	v_add3_u32 v44, v206, v47, 1                               // 00000000A6D0: D1FF002C 02065FCE
	v_cndmask_b32_e64 v50, v44, v46, s[48:49]                  // 00000000A6D8: D1000032 00C25D2C
	v_cmp_u_f32_e64 s[48:49], v207, v207                       // 00000000A6E0: D0480030 00039FCF
	v_add3_u32 v44, v207, v47, 1                               // 00000000A6E8: D1FF002C 02065FCF
	v_cndmask_b32_e64 v51, v44, v46, s[48:49]                  // 00000000A6F0: D1000033 00C25D2C
	v_perm_b32 v191, v51, v50, s52                             // 00000000A6F8: D1ED00BF 00D26533
	s_cmp_ge_u32 s80, 0x200                                    // 00000000A700: BF09FF50 00000200
	s_cselect_b32 s59, 0x200, s59                              // 00000000A708: 853B3BFF 00000200
	s_setvskip s20, 0                                          // 00000000A710: BF108014
	global_atomic_pk_add_bf16 v80, v64, s[8:9]                 // 00000000A714: DD488000 00084050
	s_setvskip 0, 0                                            // 00000000A71C: BF108080
	s_setvskip s20, 0                                          // 00000000A720: BF108014
	global_atomic_pk_add_bf16 v80, v65, s[8:9] offset:256      // 00000000A724: DD488100 00084150
	s_setvskip 0, 0                                            // 00000000A72C: BF108080
	s_setvskip s20, 1                                          // 00000000A730: BF108114
	global_atomic_pk_add_bf16 v82, v66, s[8:9]                 // 00000000A734: DD488000 00084252
	s_setvskip 0, 0                                            // 00000000A73C: BF108080
	s_setvskip s20, 1                                          // 00000000A740: BF108114
	global_atomic_pk_add_bf16 v82, v67, s[8:9] offset:256      // 00000000A744: DD488100 00084352
	s_setvskip 0, 0                                            // 00000000A74C: BF108080
	s_setvskip s20, 2                                          // 00000000A750: BF108214
	global_atomic_pk_add_bf16 v84, v68, s[8:9]                 // 00000000A754: DD488000 00084454
	s_setvskip 0, 0                                            // 00000000A75C: BF108080
	s_setvskip s20, 2                                          // 00000000A760: BF108214
	global_atomic_pk_add_bf16 v84, v69, s[8:9] offset:256      // 00000000A764: DD488100 00084554
	s_setvskip 0, 0                                            // 00000000A76C: BF108080
	s_setvskip s20, 3                                          // 00000000A770: BF108314
	global_atomic_pk_add_bf16 v86, v70, s[8:9]                 // 00000000A774: DD488000 00084656
	s_setvskip 0, 0                                            // 00000000A77C: BF108080
	s_setvskip s20, 3                                          // 00000000A780: BF108314
	global_atomic_pk_add_bf16 v86, v71, s[8:9] offset:256      // 00000000A784: DD488100 00084756
	s_setvskip 0, 0                                            // 00000000A78C: BF108080
	s_setvskip s20, 4                                          // 00000000A790: BF108414
	global_atomic_pk_add_bf16 v88, v72, s[8:9]                 // 00000000A794: DD488000 00084858
	s_setvskip 0, 0                                            // 00000000A79C: BF108080
	s_setvskip s20, 4                                          // 00000000A7A0: BF108414
	global_atomic_pk_add_bf16 v88, v73, s[8:9] offset:256      // 00000000A7A4: DD488100 00084958
	s_setvskip 0, 0                                            // 00000000A7AC: BF108080
	s_setvskip s20, 5                                          // 00000000A7B0: BF108514
	global_atomic_pk_add_bf16 v90, v74, s[8:9]                 // 00000000A7B4: DD488000 00084A5A
	s_setvskip 0, 0                                            // 00000000A7BC: BF108080
	s_setvskip s20, 5                                          // 00000000A7C0: BF108514
	global_atomic_pk_add_bf16 v90, v75, s[8:9] offset:256      // 00000000A7C4: DD488100 00084B5A
	s_setvskip 0, 0                                            // 00000000A7CC: BF108080
	s_setvskip s20, 6                                          // 00000000A7D0: BF108614
	global_atomic_pk_add_bf16 v92, v76, s[8:9]                 // 00000000A7D4: DD488000 00084C5C
	s_setvskip 0, 0                                            // 00000000A7DC: BF108080
	s_setvskip s20, 6                                          // 00000000A7E0: BF108614
	global_atomic_pk_add_bf16 v92, v77, s[8:9] offset:256      // 00000000A7E4: DD488100 00084D5C
	s_setvskip 0, 0                                            // 00000000A7EC: BF108080
	s_setvskip s20, 7                                          // 00000000A7F0: BF108714
	global_atomic_pk_add_bf16 v94, v78, s[8:9]                 // 00000000A7F4: DD488000 00084E5E
	s_setvskip 0, 0                                            // 00000000A7FC: BF108080
	s_setvskip s20, 7                                          // 00000000A800: BF108714
	global_atomic_pk_add_bf16 v94, v79, s[8:9] offset:256      // 00000000A804: DD488100 00084F5E
	s_setvskip 0, 0                                            // 00000000A80C: BF108080
	s_add_u32 s8, s59, s8                                      // 00000000A810: 8008083B
	s_addc_u32 s9, 0, s9                                       // 00000000A814: 82090980
	s_addk_i32 s80, 0x100                                      // 00000000A818: B7500100
	s_cmp_lt_i32 s80, s81                                      // 00000000A81C: BF045150
	s_cbranch_scc0 label_11EF                                  // 00000000A820: BF84F366
	s_waitcnt vmcnt(21) lgkmcnt(0)                             // 00000000A824: BF8C4075
	s_barrier                                                  // 00000000A828: BF8A0000
	v_mfma_f32_16x16x32_fp8_fp8 v[208:211], a[96:97], v[128:129], 0// 00000000A82C: D3F300D0 0A030160
	buffer_load_dwordx4 a[0:3], v40, s[12:15], 0 offen         // 00000000A834: E05C1000 80830028
	v_mfma_f32_16x16x32_fp8_fp8 v[208:211], a[98:99], v[130:131], v[208:211]// 00000000A83C: D3F300D0 0F430562
	ds_read_b32 v64, v4 offset:36096                           // 00000000A844: D86C8D00 40000004
	ds_read_b32 v65, v4 offset:40448                           // 00000000A84C: D86C9E00 41000004
	v_mfma_f32_16x16x32_fp8_fp8 v[212:215], a[96:97], v[152:153], 0// 00000000A854: D3F300D4 0A033160
	v_mfma_f32_16x16x32_fp8_fp8 v[212:215], a[98:99], v[154:155], v[212:215]// 00000000A85C: D3F300D4 0F533562
	ds_read_b32 v66, v4 offset:36128                           // 00000000A864: D86C8D20 42000004
	ds_read_b32 v67, v4 offset:40480                           // 00000000A86C: D86C9E20 43000004
	v_mfma_f32_16x16x32_fp8_fp8 v[216:219], a[100:101], v[128:129], 0// 00000000A874: D3F300D8 0A030164
	buffer_load_dwordx4 a[4:7], v41, s[12:15], 0 offen         // 00000000A87C: E05C1000 80830429
	v_mfma_f32_16x16x32_fp8_fp8 v[216:219], a[102:103], v[130:131], v[216:219]// 00000000A884: D3F300D8 0F630566
	ds_read_b32 v68, v4 offset:36160                           // 00000000A88C: D86C8D40 44000004
	ds_read_b32 v69, v4 offset:40512                           // 00000000A894: D86C9E40 45000004
	v_mfma_f32_16x16x32_fp8_fp8 v[220:223], a[100:101], v[152:153], 0// 00000000A89C: D3F300DC 0A033164
	v_mfma_f32_16x16x32_fp8_fp8 v[220:223], a[102:103], v[154:155], v[220:223]// 00000000A8A4: D3F300DC 0F733566
	ds_read_b32 v70, v4 offset:36192                           // 00000000A8AC: D86C8D60 46000004
	ds_read_b32 v71, v4 offset:40544                           // 00000000A8B4: D86C9E60 47000004
	v_mfma_f32_16x16x32_fp8_fp8 v[224:227], a[104:105], v[128:129], 0// 00000000A8BC: D3F300E0 0A030168
	buffer_load_dwordx4 a[8:11], v42, s[12:15], 0 offen        // 00000000A8C4: E05C1000 8083082A
	v_mfma_f32_16x16x32_fp8_fp8 v[224:227], a[106:107], v[130:131], v[224:227]// 00000000A8CC: D3F300E0 0F83056A
	ds_read_b32 v72, v4 offset:44800                           // 00000000A8D4: D86CAF00 48000004
	ds_read_b32 v73, v4 offset:49152                           // 00000000A8DC: D86CC000 49000004
	v_mfma_f32_16x16x32_fp8_fp8 v[228:231], a[104:105], v[152:153], 0// 00000000A8E4: D3F300E4 0A033168
	v_mfma_f32_16x16x32_fp8_fp8 v[228:231], a[106:107], v[154:155], v[228:231]// 00000000A8EC: D3F300E4 0F93356A
	ds_read_b32 v74, v4 offset:44832                           // 00000000A8F4: D86CAF20 4A000004
	ds_read_b32 v75, v4 offset:49184                           // 00000000A8FC: D86CC020 4B000004
	v_mfma_f32_16x16x32_fp8_fp8 v[232:235], a[108:109], v[128:129], 0// 00000000A904: D3F300E8 0A03016C
	buffer_load_dwordx4 a[12:15], v43, s[12:15], 0 offen       // 00000000A90C: E05C1000 80830C2B
	s_add_u32 s12, s78, s12                                    // 00000000A914: 800C0C4E
	s_addc_u32 s13, 0, s13                                     // 00000000A918: 820D0D80
	v_mfma_f32_16x16x32_fp8_fp8 v[232:235], a[110:111], v[130:131], v[232:235]// 00000000A91C: D3F300E8 0FA3056E
	ds_read_b32 v76, v4 offset:44864                           // 00000000A924: D86CAF40 4C000004
	ds_read_b32 v77, v4 offset:49216                           // 00000000A92C: D86CC040 4D000004
	v_mfma_f32_16x16x32_fp8_fp8 v[236:239], a[108:109], v[152:153], 0// 00000000A934: D3F300EC 0A03316C
	v_mfma_f32_16x16x32_fp8_fp8 v[236:239], a[110:111], v[154:155], v[236:239]// 00000000A93C: D3F300EC 0FB3356E
	ds_read_b32 v78, v4 offset:44896                           // 00000000A944: D86CAF60 4E000004
	ds_read_b32 v79, v4 offset:49248                           // 00000000A94C: D86CC060 4F000004
	s_waitcnt vmcnt(21)                                        // 00000000A954: BF8C4F75
	v_mfma_f32_16x16x32_fp8_fp8 v[208:211], a[112:113], v[132:133], v[208:211]// 00000000A958: D3F300D0 0F430970
	buffer_load_dwordx4 a[16:19], v40, s[12:15], 0 offen       // 00000000A960: E05C1000 80831028
	v_mfma_f32_16x16x32_fp8_fp8 v[208:211], a[114:115], v[134:135], v[208:211]// 00000000A968: D3F300D0 0F430D72
	v_mfma_f32_16x16x32_fp8_fp8 v[212:215], a[112:113], v[156:157], v[212:215]// 00000000A970: D3F300D4 0F533970
	v_mfma_f32_16x16x32_fp8_fp8 v[212:215], a[114:115], v[158:159], v[212:215]// 00000000A978: D3F300D4 0F533D72
	v_mfma_f32_16x16x32_fp8_fp8 v[216:219], a[116:117], v[132:133], v[216:219]// 00000000A980: D3F300D8 0F630974
	buffer_load_dwordx4 a[20:23], v41, s[12:15], 0 offen       // 00000000A988: E05C1000 80831429
	v_mfma_f32_16x16x32_fp8_fp8 v[216:219], a[118:119], v[134:135], v[216:219]// 00000000A990: D3F300D8 0F630D76
	v_mfma_f32_16x16x32_fp8_fp8 v[220:223], a[116:117], v[156:157], v[220:223]// 00000000A998: D3F300DC 0F733974
	v_mfma_f32_16x16x32_fp8_fp8 v[220:223], a[118:119], v[158:159], v[220:223]// 00000000A9A0: D3F300DC 0F733D76
	v_mfma_f32_16x16x32_fp8_fp8 v[224:227], a[120:121], v[132:133], v[224:227]// 00000000A9A8: D3F300E0 0F830978
	buffer_load_dwordx4 a[24:27], v42, s[12:15], 0 offen       // 00000000A9B0: E05C1000 8083182A
	v_mfma_f32_16x16x32_fp8_fp8 v[224:227], a[122:123], v[134:135], v[224:227]// 00000000A9B8: D3F300E0 0F830D7A
	v_mfma_f32_16x16x32_fp8_fp8 v[228:231], a[120:121], v[156:157], v[228:231]// 00000000A9C0: D3F300E4 0F933978
	v_mfma_f32_16x16x32_fp8_fp8 v[228:231], a[122:123], v[158:159], v[228:231]// 00000000A9C8: D3F300E4 0F933D7A
	v_mfma_f32_16x16x32_fp8_fp8 v[232:235], a[124:125], v[132:133], v[232:235]// 00000000A9D0: D3F300E8 0FA3097C
	buffer_load_dwordx4 a[28:31], v43, s[12:15], 0 offen       // 00000000A9D8: E05C1000 80831C2B
	s_add_u32 s12, s78, s12                                    // 00000000A9E0: 800C0C4E
	s_addc_u32 s13, 0, s13                                     // 00000000A9E4: 820D0D80
	v_mfma_f32_16x16x32_fp8_fp8 v[232:235], a[126:127], v[134:135], v[232:235]// 00000000A9E8: D3F300E8 0FA30D7E
	v_mfma_f32_16x16x32_fp8_fp8 v[236:239], a[124:125], v[156:157], v[236:239]// 00000000A9F0: D3F300EC 0FB3397C
	v_mfma_f32_16x16x32_fp8_fp8 v[236:239], a[126:127], v[158:159], v[236:239]// 00000000A9F8: D3F300EC 0FB33D7E
	s_waitcnt vmcnt(21)                                        // 00000000AA00: BF8C4F75
	v_mfma_f32_16x16x32_fp8_fp8 v[208:211], a[128:129], v[136:137], v[208:211]// 00000000AA04: D3F300D0 0F431180
	buffer_load_dwordx4 a[32:35], v40, s[12:15], 0 offen       // 00000000AA0C: E05C1000 80832028
	v_mfma_f32_16x16x32_fp8_fp8 v[208:211], a[130:131], v[138:139], v[208:211]// 00000000AA14: D3F300D0 0F431582
	ds_write_b64 v3, v[176:177] offset:18688                   // 00000000AA1C: D89A4900 0000B003
	v_mfma_f32_16x16x32_fp8_fp8 v[212:215], a[128:129], v[160:161], v[212:215]// 00000000AA24: D3F300D4 0F534180
	v_mfma_f32_16x16x32_fp8_fp8 v[212:215], a[130:131], v[162:163], v[212:215]// 00000000AA2C: D3F300D4 0F534582
	ds_write_b64 v3, v[178:179] offset:27392                   // 00000000AA34: D89A6B00 0000B203
	v_mfma_f32_16x16x32_fp8_fp8 v[216:219], a[132:133], v[136:137], v[216:219]// 00000000AA3C: D3F300D8 0F631184
	buffer_load_dwordx4 a[36:39], v41, s[12:15], 0 offen       // 00000000AA44: E05C1000 80832429
	v_mfma_f32_16x16x32_fp8_fp8 v[216:219], a[134:135], v[138:139], v[216:219]// 00000000AA4C: D3F300D8 0F631586
	ds_write_b64 v3, v[180:181] offset:20864                   // 00000000AA54: D89A5180 0000B403
	v_mfma_f32_16x16x32_fp8_fp8 v[220:223], a[132:133], v[160:161], v[220:223]// 00000000AA5C: D3F300DC 0F734184
	v_mfma_f32_16x16x32_fp8_fp8 v[220:223], a[134:135], v[162:163], v[220:223]// 00000000AA64: D3F300DC 0F734586
	ds_write_b64 v3, v[182:183] offset:29568                   // 00000000AA6C: D89A7380 0000B603
	v_mfma_f32_16x16x32_fp8_fp8 v[224:227], a[136:137], v[136:137], v[224:227]// 00000000AA74: D3F300E0 0F831188
	buffer_load_dwordx4 a[40:43], v42, s[12:15], 0 offen       // 00000000AA7C: E05C1000 8083282A
	v_mfma_f32_16x16x32_fp8_fp8 v[224:227], a[138:139], v[138:139], v[224:227]// 00000000AA84: D3F300E0 0F83158A
	ds_write_b64 v3, v[184:185] offset:23040                   // 00000000AA8C: D89A5A00 0000B803
	v_mfma_f32_16x16x32_fp8_fp8 v[228:231], a[136:137], v[160:161], v[228:231]// 00000000AA94: D3F300E4 0F934188
	v_mfma_f32_16x16x32_fp8_fp8 v[228:231], a[138:139], v[162:163], v[228:231]// 00000000AA9C: D3F300E4 0F93458A
	ds_write_b64 v3, v[186:187] offset:31744                   // 00000000AAA4: D89A7C00 0000BA03
	v_mfma_f32_16x16x32_fp8_fp8 v[232:235], a[140:141], v[136:137], v[232:235]// 00000000AAAC: D3F300E8 0FA3118C
	buffer_load_dwordx4 a[44:47], v43, s[12:15], 0 offen       // 00000000AAB4: E05C1000 80832C2B
	s_add_u32 s12, s78, s12                                    // 00000000AABC: 800C0C4E
	s_addc_u32 s13, 0, s13                                     // 00000000AAC0: 820D0D80
	v_mfma_f32_16x16x32_fp8_fp8 v[232:235], a[142:143], v[138:139], v[232:235]// 00000000AAC4: D3F300E8 0FA3158E
	ds_write_b64 v3, v[188:189] offset:25216                   // 00000000AACC: D89A6280 0000BC03
	v_mfma_f32_16x16x32_fp8_fp8 v[236:239], a[140:141], v[160:161], v[236:239]// 00000000AAD4: D3F300EC 0FB3418C
	v_mfma_f32_16x16x32_fp8_fp8 v[236:239], a[142:143], v[162:163], v[236:239]// 00000000AADC: D3F300EC 0FB3458E
	ds_write_b64 v3, v[190:191] offset:33920                   // 00000000AAE4: D89A8480 0000BE03
	s_waitcnt vmcnt(21)                                        // 00000000AAEC: BF8C4F75
	v_mfma_f32_16x16x32_fp8_fp8 v[208:211], a[144:145], v[140:141], v[208:211]// 00000000AAF0: D3F300D0 0F431990
	buffer_load_dwordx4 a[48:51], v40, s[12:15], 0 offen       // 00000000AAF8: E05C1000 80833028
	v_mfma_f32_16x16x32_fp8_fp8 v[208:211], a[146:147], v[142:143], v[208:211]// 00000000AB00: D3F300D0 0F431D92
	v_mfma_f32_16x16x32_fp8_fp8 v[212:215], a[144:145], v[164:165], v[212:215]// 00000000AB08: D3F300D4 0F534990
	v_mfma_f32_16x16x32_fp8_fp8 v[212:215], a[146:147], v[166:167], v[212:215]// 00000000AB10: D3F300D4 0F534D92
	v_mfma_f32_16x16x32_fp8_fp8 v[216:219], a[148:149], v[140:141], v[216:219]// 00000000AB18: D3F300D8 0F631994
	buffer_load_dwordx4 a[52:55], v41, s[12:15], 0 offen       // 00000000AB20: E05C1000 80833429
	v_mfma_f32_16x16x32_fp8_fp8 v[216:219], a[150:151], v[142:143], v[216:219]// 00000000AB28: D3F300D8 0F631D96
	v_mfma_f32_16x16x32_fp8_fp8 v[220:223], a[148:149], v[164:165], v[220:223]// 00000000AB30: D3F300DC 0F734994
	v_mfma_f32_16x16x32_fp8_fp8 v[220:223], a[150:151], v[166:167], v[220:223]// 00000000AB38: D3F300DC 0F734D96
	v_mfma_f32_16x16x32_fp8_fp8 v[224:227], a[152:153], v[140:141], v[224:227]// 00000000AB40: D3F300E0 0F831998
	buffer_load_dwordx4 a[56:59], v42, s[12:15], 0 offen       // 00000000AB48: E05C1000 8083382A
	v_mfma_f32_16x16x32_fp8_fp8 v[224:227], a[154:155], v[142:143], v[224:227]// 00000000AB50: D3F300E0 0F831D9A
	v_mfma_f32_16x16x32_fp8_fp8 v[228:231], a[152:153], v[164:165], v[228:231]// 00000000AB58: D3F300E4 0F934998
	v_mfma_f32_16x16x32_fp8_fp8 v[228:231], a[154:155], v[166:167], v[228:231]// 00000000AB60: D3F300E4 0F934D9A
	v_mfma_f32_16x16x32_fp8_fp8 v[232:235], a[156:157], v[140:141], v[232:235]// 00000000AB68: D3F300E8 0FA3199C
	buffer_load_dwordx4 a[60:63], v43, s[12:15], 0 offen       // 00000000AB70: E05C1000 80833C2B
	s_add_u32 s12, s78, s12                                    // 00000000AB78: 800C0C4E
	s_addc_u32 s13, 0, s13                                     // 00000000AB7C: 820D0D80
	v_mfma_f32_16x16x32_fp8_fp8 v[232:235], a[158:159], v[142:143], v[232:235]// 00000000AB80: D3F300E8 0FA31D9E
	v_mfma_f32_16x16x32_fp8_fp8 v[236:239], a[156:157], v[164:165], v[236:239]// 00000000AB88: D3F300EC 0FB3499C
	v_mfma_f32_16x16x32_fp8_fp8 v[236:239], a[158:159], v[166:167], v[236:239]// 00000000AB90: D3F300EC 0FB34D9E
	s_waitcnt vmcnt(21)                                        // 00000000AB98: BF8C4F75
	v_mfma_f32_16x16x32_fp8_fp8 v[208:211], a[160:161], v[144:145], v[208:211]// 00000000AB9C: D3F300D0 0F4321A0
	buffer_load_dwordx4 a[64:67], v40, s[12:15], 0 offen       // 00000000ABA4: E05C1000 80834028
	v_mfma_f32_16x16x32_fp8_fp8 v[208:211], a[162:163], v[146:147], v[208:211]// 00000000ABAC: D3F300D0 0F4325A2
	v_mfma_f32_16x16x32_fp8_fp8 v[212:215], a[160:161], v[168:169], v[212:215]// 00000000ABB4: D3F300D4 0F5351A0
	v_mfma_f32_16x16x32_fp8_fp8 v[212:215], a[162:163], v[170:171], v[212:215]// 00000000ABBC: D3F300D4 0F5355A2
	v_mfma_f32_16x16x32_fp8_fp8 v[216:219], a[164:165], v[144:145], v[216:219]// 00000000ABC4: D3F300D8 0F6321A4
	buffer_load_dwordx4 a[68:71], v41, s[12:15], 0 offen       // 00000000ABCC: E05C1000 80834429
	v_mfma_f32_16x16x32_fp8_fp8 v[216:219], a[166:167], v[146:147], v[216:219]// 00000000ABD4: D3F300D8 0F6325A6
	v_mfma_f32_16x16x32_fp8_fp8 v[220:223], a[164:165], v[168:169], v[220:223]// 00000000ABDC: D3F300DC 0F7351A4
	v_mfma_f32_16x16x32_fp8_fp8 v[220:223], a[166:167], v[170:171], v[220:223]// 00000000ABE4: D3F300DC 0F7355A6
	v_mfma_f32_16x16x32_fp8_fp8 v[224:227], a[168:169], v[144:145], v[224:227]// 00000000ABEC: D3F300E0 0F8321A8
	buffer_load_dwordx4 a[72:75], v42, s[12:15], 0 offen       // 00000000ABF4: E05C1000 8083482A
	v_mfma_f32_16x16x32_fp8_fp8 v[224:227], a[170:171], v[146:147], v[224:227]// 00000000ABFC: D3F300E0 0F8325AA
	v_mfma_f32_16x16x32_fp8_fp8 v[228:231], a[168:169], v[168:169], v[228:231]// 00000000AC04: D3F300E4 0F9351A8
	v_mfma_f32_16x16x32_fp8_fp8 v[228:231], a[170:171], v[170:171], v[228:231]// 00000000AC0C: D3F300E4 0F9355AA
	v_mfma_f32_16x16x32_fp8_fp8 v[232:235], a[172:173], v[144:145], v[232:235]// 00000000AC14: D3F300E8 0FA321AC
	buffer_load_dwordx4 a[76:79], v43, s[12:15], 0 offen       // 00000000AC1C: E05C1000 80834C2B
	s_add_u32 s12, s78, s12                                    // 00000000AC24: 800C0C4E
	s_addc_u32 s13, 0, s13                                     // 00000000AC28: 820D0D80
	v_mfma_f32_16x16x32_fp8_fp8 v[232:235], a[174:175], v[146:147], v[232:235]// 00000000AC2C: D3F300E8 0FA325AE
	v_mfma_f32_16x16x32_fp8_fp8 v[236:239], a[172:173], v[168:169], v[236:239]// 00000000AC34: D3F300EC 0FB351AC
	v_mfma_f32_16x16x32_fp8_fp8 v[236:239], a[174:175], v[170:171], v[236:239]// 00000000AC3C: D3F300EC 0FB355AE
	s_waitcnt vmcnt(20)                                        // 00000000AC44: BF8C4F74
	v_mfma_f32_16x16x32_fp8_fp8 v[208:211], a[176:177], v[148:149], v[208:211]// 00000000AC48: D3F300D0 0F4329B0
	buffer_load_dwordx4 a[80:83], v40, s[12:15], 0 offen       // 00000000AC50: E05C1000 80835028
	v_mfma_f32_16x16x32_fp8_fp8 v[208:211], a[178:179], v[150:151], v[208:211]// 00000000AC58: D3F300D0 0F432DB2
	v_mfma_f32_16x16x32_fp8_fp8 v[212:215], a[176:177], v[172:173], v[212:215]// 00000000AC60: D3F300D4 0F5359B0
	buffer_load_dword v12, v5, s[16:19], 0 offen               // 00000000AC68: E0501000 80040C05
	v_mfma_f32_16x16x32_fp8_fp8 v[212:215], a[178:179], v[174:175], v[212:215]// 00000000AC70: D3F300D4 0F535DB2
	v_mfma_f32_16x16x32_fp8_fp8 v[216:219], a[180:181], v[148:149], v[216:219]// 00000000AC78: D3F300D8 0F6329B4
	buffer_load_dwordx4 a[84:87], v41, s[12:15], 0 offen       // 00000000AC80: E05C1000 80835429
	v_mfma_f32_16x16x32_fp8_fp8 v[216:219], a[182:183], v[150:151], v[216:219]// 00000000AC88: D3F300D8 0F632DB6
	v_mfma_f32_16x16x32_fp8_fp8 v[220:223], a[180:181], v[172:173], v[220:223]// 00000000AC90: D3F300DC 0F7359B4
	v_mfma_f32_16x16x32_fp8_fp8 v[220:223], a[182:183], v[174:175], v[220:223]// 00000000AC98: D3F300DC 0F735DB6
	v_mfma_f32_16x16x32_fp8_fp8 v[224:227], a[184:185], v[148:149], v[224:227]// 00000000ACA0: D3F300E0 0F8329B8
	buffer_load_dwordx4 a[88:91], v42, s[12:15], 0 offen       // 00000000ACA8: E05C1000 8083582A
	v_mfma_f32_16x16x32_fp8_fp8 v[224:227], a[186:187], v[150:151], v[224:227]// 00000000ACB0: D3F300E0 0F832DBA
	v_mfma_f32_16x16x32_fp8_fp8 v[228:231], a[184:185], v[172:173], v[228:231]// 00000000ACB8: D3F300E4 0F9359B8
	v_mfma_f32_16x16x32_fp8_fp8 v[228:231], a[186:187], v[174:175], v[228:231]// 00000000ACC0: D3F300E4 0F935DBA
	v_mfma_f32_16x16x32_fp8_fp8 v[232:235], a[188:189], v[148:149], v[232:235]// 00000000ACC8: D3F300E8 0FA329BC
	buffer_load_dwordx4 a[92:95], v43, s[12:15], 0 offen       // 00000000ACD0: E05C1000 80835C2B
	v_mfma_f32_16x16x32_fp8_fp8 v[232:235], a[190:191], v[150:151], v[232:235]// 00000000ACD8: D3F300E8 0FA32DBE
	v_mfma_f32_16x16x32_fp8_fp8 v[236:239], a[188:189], v[172:173], v[236:239]// 00000000ACE0: D3F300EC 0FB359BC
	v_mfma_f32_16x16x32_fp8_fp8 v[236:239], a[190:191], v[174:175], v[236:239]// 00000000ACE8: D3F300EC 0FB35DBE
	s_add_u32 s60, 0x200, s80                                  // 00000000ACF0: 803C50FF 00000200
	s_cmp_lt_u32 s60, s81                                      // 00000000ACF8: BF0A513C
	s_cselect_b32 s56, s56, 0                                  // 00000000ACFC: 85388038
	s_cselect_b32 s78, s78, 0                                  // 00000000AD00: 854E804E
	s_cselect_b32 s79, s79, 0                                  // 00000000AD04: 854F804F
	s_add_u32 s12, s56, s12                                    // 00000000AD08: 800C0C38
	s_addc_u32 s13, 0, s13                                     // 00000000AD0C: 820D0D80
	s_add_u32 s16, s79, s16                                    // 00000000AD10: 8010104F
	s_addc_u32 s17, 0, s17                                     // 00000000AD14: 82111180
	v_mul_f32_e32 v208, v24, v208                              // 00000000AD18: 0BA1A118
	v_mul_f32_e32 v209, v24, v209                              // 00000000AD1C: 0BA3A318
	v_mul_f32_e32 v210, v24, v210                              // 00000000AD20: 0BA5A518
	v_mul_f32_e32 v211, v24, v211                              // 00000000AD24: 0BA7A718
	v_mul_f32_dpp v208, v13, v208 row_newbcast:0 row_mask:0xf bank_mask:0xf// 00000000AD28: 0BA1A0FA FF01500D
	v_mul_f32_dpp v209, v13, v209 row_newbcast:1 row_mask:0xf bank_mask:0xf// 00000000AD30: 0BA3A2FA FF01510D
	v_mul_f32_dpp v210, v13, v210 row_newbcast:2 row_mask:0xf bank_mask:0xf// 00000000AD38: 0BA5A4FA FF01520D
	v_mul_f32_dpp v211, v13, v211 row_newbcast:3 row_mask:0xf bank_mask:0xf// 00000000AD40: 0BA7A6FA FF01530D
	v_mul_f32_e32 v208, v20, v208                              // 00000000AD48: 0BA1A114
	v_mul_f32_e32 v209, v20, v209                              // 00000000AD4C: 0BA3A314
	v_mul_f32_e32 v210, v20, v210                              // 00000000AD50: 0BA5A514
	v_mul_f32_e32 v211, v20, v211                              // 00000000AD54: 0BA7A714
	v_mul_f32_e32 v212, v25, v212                              // 00000000AD58: 0BA9A919
	v_mul_f32_e32 v213, v25, v213                              // 00000000AD5C: 0BABAB19
	v_mul_f32_e32 v214, v25, v214                              // 00000000AD60: 0BADAD19
	v_mul_f32_e32 v215, v25, v215                              // 00000000AD64: 0BAFAF19
	v_mul_f32_dpp v212, v13, v212 row_newbcast:0 row_mask:0xf bank_mask:0xf// 00000000AD68: 0BA9A8FA FF01500D
	v_mul_f32_dpp v213, v13, v213 row_newbcast:1 row_mask:0xf bank_mask:0xf// 00000000AD70: 0BABAAFA FF01510D
	v_mul_f32_dpp v214, v13, v214 row_newbcast:2 row_mask:0xf bank_mask:0xf// 00000000AD78: 0BADACFA FF01520D
	v_mul_f32_dpp v215, v13, v215 row_newbcast:3 row_mask:0xf bank_mask:0xf// 00000000AD80: 0BAFAEFA FF01530D
	v_mul_f32_e32 v212, v21, v212                              // 00000000AD88: 0BA9A915
	v_mul_f32_e32 v213, v21, v213                              // 00000000AD8C: 0BABAB15
	v_mul_f32_e32 v214, v21, v214                              // 00000000AD90: 0BADAD15
	v_mul_f32_e32 v215, v21, v215                              // 00000000AD94: 0BAFAF15
	v_mul_f32_e32 v216, v24, v216                              // 00000000AD98: 0BB1B118
	v_mul_f32_e32 v217, v24, v217                              // 00000000AD9C: 0BB3B318
	v_mul_f32_e32 v218, v24, v218                              // 00000000ADA0: 0BB5B518
	v_mul_f32_e32 v219, v24, v219                              // 00000000ADA4: 0BB7B718
	v_mul_f32_dpp v216, v13, v216 row_newbcast:4 row_mask:0xf bank_mask:0xf// 00000000ADA8: 0BB1B0FA FF01540D
	v_mul_f32_dpp v217, v13, v217 row_newbcast:5 row_mask:0xf bank_mask:0xf// 00000000ADB0: 0BB3B2FA FF01550D
	v_mul_f32_dpp v218, v13, v218 row_newbcast:6 row_mask:0xf bank_mask:0xf// 00000000ADB8: 0BB5B4FA FF01560D
	v_mul_f32_dpp v219, v13, v219 row_newbcast:7 row_mask:0xf bank_mask:0xf// 00000000ADC0: 0BB7B6FA FF01570D
	v_mul_f32_e32 v216, v20, v216                              // 00000000ADC8: 0BB1B114
	v_mul_f32_e32 v217, v20, v217                              // 00000000ADCC: 0BB3B314
	v_mul_f32_e32 v218, v20, v218                              // 00000000ADD0: 0BB5B514
	v_mul_f32_e32 v219, v20, v219                              // 00000000ADD4: 0BB7B714
	v_mul_f32_e32 v220, v25, v220                              // 00000000ADD8: 0BB9B919
	v_mul_f32_e32 v221, v25, v221                              // 00000000ADDC: 0BBBBB19
	v_mul_f32_e32 v222, v25, v222                              // 00000000ADE0: 0BBDBD19
	v_mul_f32_e32 v223, v25, v223                              // 00000000ADE4: 0BBFBF19
	v_mul_f32_dpp v220, v13, v220 row_newbcast:4 row_mask:0xf bank_mask:0xf// 00000000ADE8: 0BB9B8FA FF01540D
	v_mul_f32_dpp v221, v13, v221 row_newbcast:5 row_mask:0xf bank_mask:0xf// 00000000ADF0: 0BBBBAFA FF01550D
	v_mul_f32_dpp v222, v13, v222 row_newbcast:6 row_mask:0xf bank_mask:0xf// 00000000ADF8: 0BBDBCFA FF01560D
	v_mul_f32_dpp v223, v13, v223 row_newbcast:7 row_mask:0xf bank_mask:0xf// 00000000AE00: 0BBFBEFA FF01570D
	v_mul_f32_e32 v220, v21, v220                              // 00000000AE08: 0BB9B915
	v_mul_f32_e32 v221, v21, v221                              // 00000000AE0C: 0BBBBB15
	v_mul_f32_e32 v222, v21, v222                              // 00000000AE10: 0BBDBD15
	v_mul_f32_e32 v223, v21, v223                              // 00000000AE14: 0BBFBF15
	v_mul_f32_e32 v224, v24, v224                              // 00000000AE18: 0BC1C118
	v_mul_f32_e32 v225, v24, v225                              // 00000000AE1C: 0BC3C318
	v_mul_f32_e32 v226, v24, v226                              // 00000000AE20: 0BC5C518
	v_mul_f32_e32 v227, v24, v227                              // 00000000AE24: 0BC7C718
	v_mul_f32_dpp v224, v13, v224 row_newbcast:8 row_mask:0xf bank_mask:0xf// 00000000AE28: 0BC1C0FA FF01580D
	v_mul_f32_dpp v225, v13, v225 row_newbcast:9 row_mask:0xf bank_mask:0xf// 00000000AE30: 0BC3C2FA FF01590D
	v_mul_f32_dpp v226, v13, v226 row_newbcast:10 row_mask:0xf bank_mask:0xf// 00000000AE38: 0BC5C4FA FF015A0D
	v_mul_f32_dpp v227, v13, v227 row_newbcast:11 row_mask:0xf bank_mask:0xf// 00000000AE40: 0BC7C6FA FF015B0D
	v_mul_f32_e32 v224, v20, v224                              // 00000000AE48: 0BC1C114
	v_mul_f32_e32 v225, v20, v225                              // 00000000AE4C: 0BC3C314
	v_mul_f32_e32 v226, v20, v226                              // 00000000AE50: 0BC5C514
	v_mul_f32_e32 v227, v20, v227                              // 00000000AE54: 0BC7C714
	v_mul_f32_e32 v228, v25, v228                              // 00000000AE58: 0BC9C919
	v_mul_f32_e32 v229, v25, v229                              // 00000000AE5C: 0BCBCB19
	v_mul_f32_e32 v230, v25, v230                              // 00000000AE60: 0BCDCD19
	v_mul_f32_e32 v231, v25, v231                              // 00000000AE64: 0BCFCF19
	v_mul_f32_dpp v228, v13, v228 row_newbcast:8 row_mask:0xf bank_mask:0xf// 00000000AE68: 0BC9C8FA FF01580D
	v_mul_f32_dpp v229, v13, v229 row_newbcast:9 row_mask:0xf bank_mask:0xf// 00000000AE70: 0BCBCAFA FF01590D
	v_mul_f32_dpp v230, v13, v230 row_newbcast:10 row_mask:0xf bank_mask:0xf// 00000000AE78: 0BCDCCFA FF015A0D
	v_mul_f32_dpp v231, v13, v231 row_newbcast:11 row_mask:0xf bank_mask:0xf// 00000000AE80: 0BCFCEFA FF015B0D
	v_mul_f32_e32 v228, v21, v228                              // 00000000AE88: 0BC9C915
	v_mul_f32_e32 v229, v21, v229                              // 00000000AE8C: 0BCBCB15
	v_mul_f32_e32 v230, v21, v230                              // 00000000AE90: 0BCDCD15
	v_mul_f32_e32 v231, v21, v231                              // 00000000AE94: 0BCFCF15
	v_mul_f32_e32 v232, v24, v232                              // 00000000AE98: 0BD1D118
	v_mul_f32_e32 v233, v24, v233                              // 00000000AE9C: 0BD3D318
	v_mul_f32_e32 v234, v24, v234                              // 00000000AEA0: 0BD5D518
	v_mul_f32_e32 v235, v24, v235                              // 00000000AEA4: 0BD7D718
	v_mul_f32_dpp v232, v13, v232 row_newbcast:12 row_mask:0xf bank_mask:0xf// 00000000AEA8: 0BD1D0FA FF015C0D
	v_mul_f32_dpp v233, v13, v233 row_newbcast:13 row_mask:0xf bank_mask:0xf// 00000000AEB0: 0BD3D2FA FF015D0D
	v_mul_f32_dpp v234, v13, v234 row_newbcast:14 row_mask:0xf bank_mask:0xf// 00000000AEB8: 0BD5D4FA FF015E0D
	v_mul_f32_dpp v235, v13, v235 row_newbcast:15 row_mask:0xf bank_mask:0xf// 00000000AEC0: 0BD7D6FA FF015F0D
	v_mul_f32_e32 v232, v20, v232                              // 00000000AEC8: 0BD1D114
	v_mul_f32_e32 v233, v20, v233                              // 00000000AECC: 0BD3D314
	v_mul_f32_e32 v234, v20, v234                              // 00000000AED0: 0BD5D514
	v_mul_f32_e32 v235, v20, v235                              // 00000000AED4: 0BD7D714
	v_mul_f32_e32 v236, v25, v236                              // 00000000AED8: 0BD9D919
	v_mul_f32_e32 v237, v25, v237                              // 00000000AEDC: 0BDBDB19
	v_mul_f32_e32 v238, v25, v238                              // 00000000AEE0: 0BDDDD19
	v_mul_f32_e32 v239, v25, v239                              // 00000000AEE4: 0BDFDF19
	v_mul_f32_dpp v236, v13, v236 row_newbcast:12 row_mask:0xf bank_mask:0xf// 00000000AEE8: 0BD9D8FA FF015C0D
	v_mul_f32_dpp v237, v13, v237 row_newbcast:13 row_mask:0xf bank_mask:0xf// 00000000AEF0: 0BDBDAFA FF015D0D
	v_mul_f32_dpp v238, v13, v238 row_newbcast:14 row_mask:0xf bank_mask:0xf// 00000000AEF8: 0BDDDCFA FF015E0D
	v_mul_f32_dpp v239, v13, v239 row_newbcast:15 row_mask:0xf bank_mask:0xf// 00000000AF00: 0BDFDEFA FF015F0D
	v_mul_f32_e32 v236, v21, v236                              // 00000000AF08: 0BD9D915
	v_mul_f32_e32 v237, v21, v237                              // 00000000AF0C: 0BDBDB15
	v_mul_f32_e32 v238, v21, v238                              // 00000000AF10: 0BDDDD15
	v_mul_f32_e32 v239, v21, v239                              // 00000000AF14: 0BDFDF15
	v_cmp_u_f32_e64 s[48:49], v208, v208                       // 00000000AF18: D0480030 0003A1D0
	v_add3_u32 v44, v208, v47, 1                               // 00000000AF20: D1FF002C 02065FD0
	v_cndmask_b32_e64 v50, v44, v46, s[48:49]                  // 00000000AF28: D1000032 00C25D2C
	v_cmp_u_f32_e64 s[48:49], v209, v209                       // 00000000AF30: D0480030 0003A3D1
	v_add3_u32 v44, v209, v47, 1                               // 00000000AF38: D1FF002C 02065FD1
	v_cndmask_b32_e64 v51, v44, v46, s[48:49]                  // 00000000AF40: D1000033 00C25D2C
	v_perm_b32 v208, v51, v50, s52                             // 00000000AF48: D1ED00D0 00D26533
	v_cmp_u_f32_e64 s[48:49], v210, v210                       // 00000000AF50: D0480030 0003A5D2
	v_add3_u32 v44, v210, v47, 1                               // 00000000AF58: D1FF002C 02065FD2
	v_cndmask_b32_e64 v50, v44, v46, s[48:49]                  // 00000000AF60: D1000032 00C25D2C
	v_cmp_u_f32_e64 s[48:49], v211, v211                       // 00000000AF68: D0480030 0003A7D3
	v_add3_u32 v44, v211, v47, 1                               // 00000000AF70: D1FF002C 02065FD3
	v_cndmask_b32_e64 v51, v44, v46, s[48:49]                  // 00000000AF78: D1000033 00C25D2C
	v_perm_b32 v209, v51, v50, s52                             // 00000000AF80: D1ED00D1 00D26533
	v_cmp_u_f32_e64 s[48:49], v212, v212                       // 00000000AF88: D0480030 0003A9D4
	v_add3_u32 v44, v212, v47, 1                               // 00000000AF90: D1FF002C 02065FD4
	v_cndmask_b32_e64 v50, v44, v46, s[48:49]                  // 00000000AF98: D1000032 00C25D2C
	v_cmp_u_f32_e64 s[48:49], v213, v213                       // 00000000AFA0: D0480030 0003ABD5
	v_add3_u32 v44, v213, v47, 1                               // 00000000AFA8: D1FF002C 02065FD5
	v_cndmask_b32_e64 v51, v44, v46, s[48:49]                  // 00000000AFB0: D1000033 00C25D2C
	v_perm_b32 v210, v51, v50, s52                             // 00000000AFB8: D1ED00D2 00D26533
	v_cmp_u_f32_e64 s[48:49], v214, v214                       // 00000000AFC0: D0480030 0003ADD6
	v_add3_u32 v44, v214, v47, 1                               // 00000000AFC8: D1FF002C 02065FD6
	v_cndmask_b32_e64 v50, v44, v46, s[48:49]                  // 00000000AFD0: D1000032 00C25D2C
	v_cmp_u_f32_e64 s[48:49], v215, v215                       // 00000000AFD8: D0480030 0003AFD7
	v_add3_u32 v44, v215, v47, 1                               // 00000000AFE0: D1FF002C 02065FD7
	v_cndmask_b32_e64 v51, v44, v46, s[48:49]                  // 00000000AFE8: D1000033 00C25D2C
	v_perm_b32 v211, v51, v50, s52                             // 00000000AFF0: D1ED00D3 00D26533
	v_cmp_u_f32_e64 s[48:49], v216, v216                       // 00000000AFF8: D0480030 0003B1D8
	v_add3_u32 v44, v216, v47, 1                               // 00000000B000: D1FF002C 02065FD8
	v_cndmask_b32_e64 v50, v44, v46, s[48:49]                  // 00000000B008: D1000032 00C25D2C
	v_cmp_u_f32_e64 s[48:49], v217, v217                       // 00000000B010: D0480030 0003B3D9
	v_add3_u32 v44, v217, v47, 1                               // 00000000B018: D1FF002C 02065FD9
	v_cndmask_b32_e64 v51, v44, v46, s[48:49]                  // 00000000B020: D1000033 00C25D2C
	v_perm_b32 v212, v51, v50, s52                             // 00000000B028: D1ED00D4 00D26533
	v_cmp_u_f32_e64 s[48:49], v218, v218                       // 00000000B030: D0480030 0003B5DA
	v_add3_u32 v44, v218, v47, 1                               // 00000000B038: D1FF002C 02065FDA
	v_cndmask_b32_e64 v50, v44, v46, s[48:49]                  // 00000000B040: D1000032 00C25D2C
	v_cmp_u_f32_e64 s[48:49], v219, v219                       // 00000000B048: D0480030 0003B7DB
	v_add3_u32 v44, v219, v47, 1                               // 00000000B050: D1FF002C 02065FDB
	v_cndmask_b32_e64 v51, v44, v46, s[48:49]                  // 00000000B058: D1000033 00C25D2C
	v_perm_b32 v213, v51, v50, s52                             // 00000000B060: D1ED00D5 00D26533
	v_cmp_u_f32_e64 s[48:49], v220, v220                       // 00000000B068: D0480030 0003B9DC
	v_add3_u32 v44, v220, v47, 1                               // 00000000B070: D1FF002C 02065FDC
	v_cndmask_b32_e64 v50, v44, v46, s[48:49]                  // 00000000B078: D1000032 00C25D2C
	v_cmp_u_f32_e64 s[48:49], v221, v221                       // 00000000B080: D0480030 0003BBDD
	v_add3_u32 v44, v221, v47, 1                               // 00000000B088: D1FF002C 02065FDD
	v_cndmask_b32_e64 v51, v44, v46, s[48:49]                  // 00000000B090: D1000033 00C25D2C
	v_perm_b32 v214, v51, v50, s52                             // 00000000B098: D1ED00D6 00D26533
	v_cmp_u_f32_e64 s[48:49], v222, v222                       // 00000000B0A0: D0480030 0003BDDE
	v_add3_u32 v44, v222, v47, 1                               // 00000000B0A8: D1FF002C 02065FDE
	v_cndmask_b32_e64 v50, v44, v46, s[48:49]                  // 00000000B0B0: D1000032 00C25D2C
	v_cmp_u_f32_e64 s[48:49], v223, v223                       // 00000000B0B8: D0480030 0003BFDF
	v_add3_u32 v44, v223, v47, 1                               // 00000000B0C0: D1FF002C 02065FDF
	v_cndmask_b32_e64 v51, v44, v46, s[48:49]                  // 00000000B0C8: D1000033 00C25D2C
	v_perm_b32 v215, v51, v50, s52                             // 00000000B0D0: D1ED00D7 00D26533
	v_cmp_u_f32_e64 s[48:49], v224, v224                       // 00000000B0D8: D0480030 0003C1E0
	v_add3_u32 v44, v224, v47, 1                               // 00000000B0E0: D1FF002C 02065FE0
	v_cndmask_b32_e64 v50, v44, v46, s[48:49]                  // 00000000B0E8: D1000032 00C25D2C
	v_cmp_u_f32_e64 s[48:49], v225, v225                       // 00000000B0F0: D0480030 0003C3E1
	v_add3_u32 v44, v225, v47, 1                               // 00000000B0F8: D1FF002C 02065FE1
	v_cndmask_b32_e64 v51, v44, v46, s[48:49]                  // 00000000B100: D1000033 00C25D2C
	v_perm_b32 v216, v51, v50, s52                             // 00000000B108: D1ED00D8 00D26533
	v_cmp_u_f32_e64 s[48:49], v226, v226                       // 00000000B110: D0480030 0003C5E2
	v_add3_u32 v44, v226, v47, 1                               // 00000000B118: D1FF002C 02065FE2
	v_cndmask_b32_e64 v50, v44, v46, s[48:49]                  // 00000000B120: D1000032 00C25D2C
	v_cmp_u_f32_e64 s[48:49], v227, v227                       // 00000000B128: D0480030 0003C7E3
	v_add3_u32 v44, v227, v47, 1                               // 00000000B130: D1FF002C 02065FE3
	v_cndmask_b32_e64 v51, v44, v46, s[48:49]                  // 00000000B138: D1000033 00C25D2C
	v_perm_b32 v217, v51, v50, s52                             // 00000000B140: D1ED00D9 00D26533
	v_cmp_u_f32_e64 s[48:49], v228, v228                       // 00000000B148: D0480030 0003C9E4
	v_add3_u32 v44, v228, v47, 1                               // 00000000B150: D1FF002C 02065FE4
	v_cndmask_b32_e64 v50, v44, v46, s[48:49]                  // 00000000B158: D1000032 00C25D2C
	v_cmp_u_f32_e64 s[48:49], v229, v229                       // 00000000B160: D0480030 0003CBE5
	v_add3_u32 v44, v229, v47, 1                               // 00000000B168: D1FF002C 02065FE5
	v_cndmask_b32_e64 v51, v44, v46, s[48:49]                  // 00000000B170: D1000033 00C25D2C
	v_perm_b32 v218, v51, v50, s52                             // 00000000B178: D1ED00DA 00D26533
	v_cmp_u_f32_e64 s[48:49], v230, v230                       // 00000000B180: D0480030 0003CDE6
	v_add3_u32 v44, v230, v47, 1                               // 00000000B188: D1FF002C 02065FE6
	v_cndmask_b32_e64 v50, v44, v46, s[48:49]                  // 00000000B190: D1000032 00C25D2C
	v_cmp_u_f32_e64 s[48:49], v231, v231                       // 00000000B198: D0480030 0003CFE7
	v_add3_u32 v44, v231, v47, 1                               // 00000000B1A0: D1FF002C 02065FE7
	v_cndmask_b32_e64 v51, v44, v46, s[48:49]                  // 00000000B1A8: D1000033 00C25D2C
	v_perm_b32 v219, v51, v50, s52                             // 00000000B1B0: D1ED00DB 00D26533
	v_cmp_u_f32_e64 s[48:49], v232, v232                       // 00000000B1B8: D0480030 0003D1E8
	v_add3_u32 v44, v232, v47, 1                               // 00000000B1C0: D1FF002C 02065FE8
	v_cndmask_b32_e64 v50, v44, v46, s[48:49]                  // 00000000B1C8: D1000032 00C25D2C
	v_cmp_u_f32_e64 s[48:49], v233, v233                       // 00000000B1D0: D0480030 0003D3E9
	v_add3_u32 v44, v233, v47, 1                               // 00000000B1D8: D1FF002C 02065FE9
	v_cndmask_b32_e64 v51, v44, v46, s[48:49]                  // 00000000B1E0: D1000033 00C25D2C
	v_perm_b32 v220, v51, v50, s52                             // 00000000B1E8: D1ED00DC 00D26533
	v_cmp_u_f32_e64 s[48:49], v234, v234                       // 00000000B1F0: D0480030 0003D5EA
	v_add3_u32 v44, v234, v47, 1                               // 00000000B1F8: D1FF002C 02065FEA
	v_cndmask_b32_e64 v50, v44, v46, s[48:49]                  // 00000000B200: D1000032 00C25D2C
	v_cmp_u_f32_e64 s[48:49], v235, v235                       // 00000000B208: D0480030 0003D7EB
	v_add3_u32 v44, v235, v47, 1                               // 00000000B210: D1FF002C 02065FEB
	v_cndmask_b32_e64 v51, v44, v46, s[48:49]                  // 00000000B218: D1000033 00C25D2C
	v_perm_b32 v221, v51, v50, s52                             // 00000000B220: D1ED00DD 00D26533
	v_cmp_u_f32_e64 s[48:49], v236, v236                       // 00000000B228: D0480030 0003D9EC
	v_add3_u32 v44, v236, v47, 1                               // 00000000B230: D1FF002C 02065FEC
	v_cndmask_b32_e64 v50, v44, v46, s[48:49]                  // 00000000B238: D1000032 00C25D2C
	v_cmp_u_f32_e64 s[48:49], v237, v237                       // 00000000B240: D0480030 0003DBED
	v_add3_u32 v44, v237, v47, 1                               // 00000000B248: D1FF002C 02065FED
	v_cndmask_b32_e64 v51, v44, v46, s[48:49]                  // 00000000B250: D1000033 00C25D2C
	v_perm_b32 v222, v51, v50, s52                             // 00000000B258: D1ED00DE 00D26533
	v_cmp_u_f32_e64 s[48:49], v238, v238                       // 00000000B260: D0480030 0003DDEE
	v_add3_u32 v44, v238, v47, 1                               // 00000000B268: D1FF002C 02065FEE
	v_cndmask_b32_e64 v50, v44, v46, s[48:49]                  // 00000000B270: D1000032 00C25D2C
	v_cmp_u_f32_e64 s[48:49], v239, v239                       // 00000000B278: D0480030 0003DFEF
	v_add3_u32 v44, v239, v47, 1                               // 00000000B280: D1FF002C 02065FEF
	v_cndmask_b32_e64 v51, v44, v46, s[48:49]                  // 00000000B288: D1000033 00C25D2C
	v_perm_b32 v223, v51, v50, s52                             // 00000000B290: D1ED00DF 00D26533
	s_cmp_ge_u32 s80, 0x200                                    // 00000000B298: BF09FF50 00000200
	s_cselect_b32 s59, 0x200, s59                              // 00000000B2A0: 853B3BFF 00000200
	s_setvskip s20, 0                                          // 00000000B2A8: BF108014
	global_atomic_pk_add_bf16 v80, v64, s[8:9]                 // 00000000B2AC: DD488000 00084050
	s_setvskip 0, 0                                            // 00000000B2B4: BF108080
	s_setvskip s20, 0                                          // 00000000B2B8: BF108014
	global_atomic_pk_add_bf16 v80, v65, s[8:9] offset:256      // 00000000B2BC: DD488100 00084150
	s_setvskip 0, 0                                            // 00000000B2C4: BF108080
	s_setvskip s20, 1                                          // 00000000B2C8: BF108114
	global_atomic_pk_add_bf16 v82, v66, s[8:9]                 // 00000000B2CC: DD488000 00084252
	s_setvskip 0, 0                                            // 00000000B2D4: BF108080
	s_setvskip s20, 1                                          // 00000000B2D8: BF108114
	global_atomic_pk_add_bf16 v82, v67, s[8:9] offset:256      // 00000000B2DC: DD488100 00084352
	s_setvskip 0, 0                                            // 00000000B2E4: BF108080
	s_setvskip s20, 2                                          // 00000000B2E8: BF108214
	global_atomic_pk_add_bf16 v84, v68, s[8:9]                 // 00000000B2EC: DD488000 00084454
	s_setvskip 0, 0                                            // 00000000B2F4: BF108080
	s_setvskip s20, 2                                          // 00000000B2F8: BF108214
	global_atomic_pk_add_bf16 v84, v69, s[8:9] offset:256      // 00000000B2FC: DD488100 00084554
	s_setvskip 0, 0                                            // 00000000B304: BF108080
	s_setvskip s20, 3                                          // 00000000B308: BF108314
	global_atomic_pk_add_bf16 v86, v70, s[8:9]                 // 00000000B30C: DD488000 00084656
	s_setvskip 0, 0                                            // 00000000B314: BF108080
	s_setvskip s20, 3                                          // 00000000B318: BF108314
	global_atomic_pk_add_bf16 v86, v71, s[8:9] offset:256      // 00000000B31C: DD488100 00084756
	s_setvskip 0, 0                                            // 00000000B324: BF108080
	s_setvskip s20, 4                                          // 00000000B328: BF108414
	global_atomic_pk_add_bf16 v88, v72, s[8:9]                 // 00000000B32C: DD488000 00084858
	s_setvskip 0, 0                                            // 00000000B334: BF108080
	s_setvskip s20, 4                                          // 00000000B338: BF108414
	global_atomic_pk_add_bf16 v88, v73, s[8:9] offset:256      // 00000000B33C: DD488100 00084958
	s_setvskip 0, 0                                            // 00000000B344: BF108080
	s_setvskip s20, 5                                          // 00000000B348: BF108514
	global_atomic_pk_add_bf16 v90, v74, s[8:9]                 // 00000000B34C: DD488000 00084A5A
	s_setvskip 0, 0                                            // 00000000B354: BF108080
	s_setvskip s20, 5                                          // 00000000B358: BF108514
	global_atomic_pk_add_bf16 v90, v75, s[8:9] offset:256      // 00000000B35C: DD488100 00084B5A
	s_setvskip 0, 0                                            // 00000000B364: BF108080
	s_setvskip s20, 6                                          // 00000000B368: BF108614
	global_atomic_pk_add_bf16 v92, v76, s[8:9]                 // 00000000B36C: DD488000 00084C5C
	s_setvskip 0, 0                                            // 00000000B374: BF108080
	s_setvskip s20, 6                                          // 00000000B378: BF108614
	global_atomic_pk_add_bf16 v92, v77, s[8:9] offset:256      // 00000000B37C: DD488100 00084D5C
	s_setvskip 0, 0                                            // 00000000B384: BF108080
	s_setvskip s20, 7                                          // 00000000B388: BF108714
	global_atomic_pk_add_bf16 v94, v78, s[8:9]                 // 00000000B38C: DD488000 00084E5E
	s_setvskip 0, 0                                            // 00000000B394: BF108080
	s_setvskip s20, 7                                          // 00000000B398: BF108714
	global_atomic_pk_add_bf16 v94, v79, s[8:9] offset:256      // 00000000B39C: DD488100 00084F5E
	s_setvskip 0, 0                                            // 00000000B3A4: BF108080
	s_add_u32 s8, s59, s8                                      // 00000000B3A8: 8008083B
	s_addc_u32 s9, 0, s9                                       // 00000000B3AC: 82090980
	s_addk_i32 s80, 0x100                                      // 00000000B3B0: B7500100
	s_cmp_lt_i32 s80, s81                                      // 00000000B3B4: BF045150
	s_cbranch_scc0 label_11EF                                  // 00000000B3B8: BF84F080
	s_branch label_1BA3                                        // 00000000B3BC: BF82FA33

000000000000b3c0 <label_2170>:
	s_cmp_ge_u32 s59, 0                                        // 00000000B3C0: BF09803B
	s_cselect_b32 s59, 0x200, s59                              // 00000000B3C4: 853B3BFF 00000200
	s_waitcnt lgkmcnt(0)                                       // 00000000B3CC: BF8CC07F
	s_barrier                                                  // 00000000B3D0: BF8A0000
	s_cmp_eq_u32 s64, 0x100                                    // 00000000B3D4: BF06FF40 00000100
	s_cbranch_scc0 label_21EC                                  // 00000000B3DC: BF840074
	ds_write_b64 v3, v[176:177] offset:18688                   // 00000000B3E0: D89A4900 0000B003
	ds_write_b64 v3, v[178:179] offset:27392                   // 00000000B3E8: D89A6B00 0000B203
	ds_write_b64 v3, v[180:181] offset:20864                   // 00000000B3F0: D89A5180 0000B403
	ds_write_b64 v3, v[182:183] offset:29568                   // 00000000B3F8: D89A7380 0000B603
	ds_write_b64 v3, v[184:185] offset:23040                   // 00000000B400: D89A5A00 0000B803
	ds_write_b64 v3, v[186:187] offset:31744                   // 00000000B408: D89A7C00 0000BA03
	ds_write_b64 v3, v[188:189] offset:25216                   // 00000000B410: D89A6280 0000BC03
	ds_write_b64 v3, v[190:191] offset:33920                   // 00000000B418: D89A8480 0000BE03
	s_waitcnt lgkmcnt(0)                                       // 00000000B420: BF8CC07F
	s_barrier                                                  // 00000000B424: BF8A0000
	ds_read_b32 v64, v4 offset:18688                           // 00000000B428: D86C4900 40000004
	ds_read_b32 v65, v4 offset:23040                           // 00000000B430: D86C5A00 41000004
	ds_read_b32 v66, v4 offset:18720                           // 00000000B438: D86C4920 42000004
	ds_read_b32 v67, v4 offset:23072                           // 00000000B440: D86C5A20 43000004
	ds_read_b32 v68, v4 offset:18752                           // 00000000B448: D86C4940 44000004
	ds_read_b32 v69, v4 offset:23104                           // 00000000B450: D86C5A40 45000004
	ds_read_b32 v70, v4 offset:18784                           // 00000000B458: D86C4960 46000004
	ds_read_b32 v71, v4 offset:23136                           // 00000000B460: D86C5A60 47000004
	ds_read_b32 v72, v4 offset:27392                           // 00000000B468: D86C6B00 48000004
	ds_read_b32 v73, v4 offset:31744                           // 00000000B470: D86C7C00 49000004
	ds_read_b32 v74, v4 offset:27424                           // 00000000B478: D86C6B20 4A000004
	ds_read_b32 v75, v4 offset:31776                           // 00000000B480: D86C7C20 4B000004
	ds_read_b32 v76, v4 offset:27456                           // 00000000B488: D86C6B40 4C000004
	ds_read_b32 v77, v4 offset:31808                           // 00000000B490: D86C7C40 4D000004
	ds_read_b32 v78, v4 offset:27488                           // 00000000B498: D86C6B60 4E000004
	ds_read_b32 v79, v4 offset:31840                           // 00000000B4A0: D86C7C60 4F000004
	s_waitcnt lgkmcnt(0)                                       // 00000000B4A8: BF8CC07F
	s_setvskip s20, 0                                          // 00000000B4AC: BF108014
	global_atomic_pk_add_bf16 v80, v64, s[8:9]                 // 00000000B4B0: DD488000 00084050
	s_setvskip 0, 0                                            // 00000000B4B8: BF108080
	s_setvskip s20, 0                                          // 00000000B4BC: BF108014
	global_atomic_pk_add_bf16 v80, v65, s[8:9] offset:256      // 00000000B4C0: DD488100 00084150
	s_setvskip 0, 0                                            // 00000000B4C8: BF108080
	s_setvskip s20, 1                                          // 00000000B4CC: BF108114
	global_atomic_pk_add_bf16 v82, v66, s[8:9]                 // 00000000B4D0: DD488000 00084252
	s_setvskip 0, 0                                            // 00000000B4D8: BF108080
	s_setvskip s20, 1                                          // 00000000B4DC: BF108114
	global_atomic_pk_add_bf16 v82, v67, s[8:9] offset:256      // 00000000B4E0: DD488100 00084352
	s_setvskip 0, 0                                            // 00000000B4E8: BF108080
	s_setvskip s20, 2                                          // 00000000B4EC: BF108214
	global_atomic_pk_add_bf16 v84, v68, s[8:9]                 // 00000000B4F0: DD488000 00084454
	s_setvskip 0, 0                                            // 00000000B4F8: BF108080
	s_setvskip s20, 2                                          // 00000000B4FC: BF108214
	global_atomic_pk_add_bf16 v84, v69, s[8:9] offset:256      // 00000000B500: DD488100 00084554
	s_setvskip 0, 0                                            // 00000000B508: BF108080
	s_setvskip s20, 3                                          // 00000000B50C: BF108314
	global_atomic_pk_add_bf16 v86, v70, s[8:9]                 // 00000000B510: DD488000 00084656
	s_setvskip 0, 0                                            // 00000000B518: BF108080
	s_setvskip s20, 3                                          // 00000000B51C: BF108314
	global_atomic_pk_add_bf16 v86, v71, s[8:9] offset:256      // 00000000B520: DD488100 00084756
	s_setvskip 0, 0                                            // 00000000B528: BF108080
	s_setvskip s20, 4                                          // 00000000B52C: BF108414
	global_atomic_pk_add_bf16 v88, v72, s[8:9]                 // 00000000B530: DD488000 00084858
	s_setvskip 0, 0                                            // 00000000B538: BF108080
	s_setvskip s20, 4                                          // 00000000B53C: BF108414
	global_atomic_pk_add_bf16 v88, v73, s[8:9] offset:256      // 00000000B540: DD488100 00084958
	s_setvskip 0, 0                                            // 00000000B548: BF108080
	s_setvskip s20, 5                                          // 00000000B54C: BF108514
	global_atomic_pk_add_bf16 v90, v74, s[8:9]                 // 00000000B550: DD488000 00084A5A
	s_setvskip 0, 0                                            // 00000000B558: BF108080
	s_setvskip s20, 5                                          // 00000000B55C: BF108514
	global_atomic_pk_add_bf16 v90, v75, s[8:9] offset:256      // 00000000B560: DD488100 00084B5A
	s_setvskip 0, 0                                            // 00000000B568: BF108080
	s_setvskip s20, 6                                          // 00000000B56C: BF108614
	global_atomic_pk_add_bf16 v92, v76, s[8:9]                 // 00000000B570: DD488000 00084C5C
	s_setvskip 0, 0                                            // 00000000B578: BF108080
	s_setvskip s20, 6                                          // 00000000B57C: BF108614
	global_atomic_pk_add_bf16 v92, v77, s[8:9] offset:256      // 00000000B580: DD488100 00084D5C
	s_setvskip 0, 0                                            // 00000000B588: BF108080
	s_setvskip s20, 7                                          // 00000000B58C: BF108714
	global_atomic_pk_add_bf16 v94, v78, s[8:9]                 // 00000000B590: DD488000 00084E5E
	s_setvskip 0, 0                                            // 00000000B598: BF108080
	s_setvskip s20, 7                                          // 00000000B59C: BF108714
	global_atomic_pk_add_bf16 v94, v79, s[8:9] offset:256      // 00000000B5A0: DD488100 00084F5E
	s_setvskip 0, 0                                            // 00000000B5A8: BF108080
	s_branch label_22C2                                        // 00000000B5AC: BF8200D6

000000000000b5b0 <label_21EC>:
	ds_read_b32 v64, v4 offset:18688                           // 00000000B5B0: D86C4900 40000004
	ds_read_b32 v65, v4 offset:23040                           // 00000000B5B8: D86C5A00 41000004
	ds_read_b32 v66, v4 offset:18720                           // 00000000B5C0: D86C4920 42000004
	ds_read_b32 v67, v4 offset:23072                           // 00000000B5C8: D86C5A20 43000004
	ds_read_b32 v68, v4 offset:18752                           // 00000000B5D0: D86C4940 44000004
	ds_read_b32 v69, v4 offset:23104                           // 00000000B5D8: D86C5A40 45000004
	ds_read_b32 v70, v4 offset:18784                           // 00000000B5E0: D86C4960 46000004
	ds_read_b32 v71, v4 offset:23136                           // 00000000B5E8: D86C5A60 47000004
	ds_read_b32 v72, v4 offset:27392                           // 00000000B5F0: D86C6B00 48000004
	ds_read_b32 v73, v4 offset:31744                           // 00000000B5F8: D86C7C00 49000004
	ds_read_b32 v74, v4 offset:27424                           // 00000000B600: D86C6B20 4A000004
	ds_read_b32 v75, v4 offset:31776                           // 00000000B608: D86C7C20 4B000004
	ds_read_b32 v76, v4 offset:27456                           // 00000000B610: D86C6B40 4C000004
	ds_read_b32 v77, v4 offset:31808                           // 00000000B618: D86C7C40 4D000004
	ds_read_b32 v78, v4 offset:27488                           // 00000000B620: D86C6B60 4E000004
	ds_read_b32 v79, v4 offset:31840                           // 00000000B628: D86C7C60 4F000004
	s_waitcnt lgkmcnt(0)                                       // 00000000B630: BF8CC07F
	s_setvskip s20, 0                                          // 00000000B634: BF108014
	global_atomic_pk_add_bf16 v80, v64, s[8:9]                 // 00000000B638: DD488000 00084050
	s_setvskip 0, 0                                            // 00000000B640: BF108080
	s_setvskip s20, 0                                          // 00000000B644: BF108014
	global_atomic_pk_add_bf16 v80, v65, s[8:9] offset:256      // 00000000B648: DD488100 00084150
	s_setvskip 0, 0                                            // 00000000B650: BF108080
	s_setvskip s20, 1                                          // 00000000B654: BF108114
	global_atomic_pk_add_bf16 v82, v66, s[8:9]                 // 00000000B658: DD488000 00084252
	s_setvskip 0, 0                                            // 00000000B660: BF108080
	s_setvskip s20, 1                                          // 00000000B664: BF108114
	global_atomic_pk_add_bf16 v82, v67, s[8:9] offset:256      // 00000000B668: DD488100 00084352
	s_setvskip 0, 0                                            // 00000000B670: BF108080
	s_setvskip s20, 2                                          // 00000000B674: BF108214
	global_atomic_pk_add_bf16 v84, v68, s[8:9]                 // 00000000B678: DD488000 00084454
	s_setvskip 0, 0                                            // 00000000B680: BF108080
	s_setvskip s20, 2                                          // 00000000B684: BF108214
	global_atomic_pk_add_bf16 v84, v69, s[8:9] offset:256      // 00000000B688: DD488100 00084554
	s_setvskip 0, 0                                            // 00000000B690: BF108080
	s_setvskip s20, 3                                          // 00000000B694: BF108314
	global_atomic_pk_add_bf16 v86, v70, s[8:9]                 // 00000000B698: DD488000 00084656
	s_setvskip 0, 0                                            // 00000000B6A0: BF108080
	s_setvskip s20, 3                                          // 00000000B6A4: BF108314
	global_atomic_pk_add_bf16 v86, v71, s[8:9] offset:256      // 00000000B6A8: DD488100 00084756
	s_setvskip 0, 0                                            // 00000000B6B0: BF108080
	s_setvskip s20, 4                                          // 00000000B6B4: BF108414
	global_atomic_pk_add_bf16 v88, v72, s[8:9]                 // 00000000B6B8: DD488000 00084858
	s_setvskip 0, 0                                            // 00000000B6C0: BF108080
	s_setvskip s20, 4                                          // 00000000B6C4: BF108414
	global_atomic_pk_add_bf16 v88, v73, s[8:9] offset:256      // 00000000B6C8: DD488100 00084958
	s_setvskip 0, 0                                            // 00000000B6D0: BF108080
	s_setvskip s20, 5                                          // 00000000B6D4: BF108514
	global_atomic_pk_add_bf16 v90, v74, s[8:9]                 // 00000000B6D8: DD488000 00084A5A
	s_setvskip 0, 0                                            // 00000000B6E0: BF108080
	s_setvskip s20, 5                                          // 00000000B6E4: BF108514
	global_atomic_pk_add_bf16 v90, v75, s[8:9] offset:256      // 00000000B6E8: DD488100 00084B5A
	s_setvskip 0, 0                                            // 00000000B6F0: BF108080
	s_setvskip s20, 6                                          // 00000000B6F4: BF108614
	global_atomic_pk_add_bf16 v92, v76, s[8:9]                 // 00000000B6F8: DD488000 00084C5C
	s_setvskip 0, 0                                            // 00000000B700: BF108080
	s_setvskip s20, 6                                          // 00000000B704: BF108614
	global_atomic_pk_add_bf16 v92, v77, s[8:9] offset:256      // 00000000B708: DD488100 00084D5C
	s_setvskip 0, 0                                            // 00000000B710: BF108080
	s_setvskip s20, 7                                          // 00000000B714: BF108714
	global_atomic_pk_add_bf16 v94, v78, s[8:9]                 // 00000000B718: DD488000 00084E5E
	s_setvskip 0, 0                                            // 00000000B720: BF108080
	s_setvskip s20, 7                                          // 00000000B724: BF108714
	global_atomic_pk_add_bf16 v94, v79, s[8:9] offset:256      // 00000000B728: DD488100 00084F5E
	s_setvskip 0, 0                                            // 00000000B730: BF108080
	s_add_u32 s8, s59, s8                                      // 00000000B734: 8008083B
	s_addc_u32 s9, 0, s9                                       // 00000000B738: 82090980
	ds_write_b64 v3, v[208:209] offset:36096                   // 00000000B73C: D89A8D00 0000D003
	ds_write_b64 v3, v[210:211] offset:44800                   // 00000000B744: D89AAF00 0000D203
	ds_write_b64 v3, v[212:213] offset:38272                   // 00000000B74C: D89A9580 0000D403
	ds_write_b64 v3, v[214:215] offset:46976                   // 00000000B754: D89AB780 0000D603
	ds_write_b64 v3, v[216:217] offset:40448                   // 00000000B75C: D89A9E00 0000D803
	ds_write_b64 v3, v[218:219] offset:49152                   // 00000000B764: D89AC000 0000DA03
	ds_write_b64 v3, v[220:221] offset:42624                   // 00000000B76C: D89AA680 0000DC03
	ds_write_b64 v3, v[222:223] offset:51328                   // 00000000B774: D89AC880 0000DE03
	s_waitcnt lgkmcnt(0)                                       // 00000000B77C: BF8CC07F
	s_barrier                                                  // 00000000B780: BF8A0000
	ds_read_b32 v64, v4 offset:36096                           // 00000000B784: D86C8D00 40000004
	ds_read_b32 v65, v4 offset:40448                           // 00000000B78C: D86C9E00 41000004
	ds_read_b32 v66, v4 offset:36128                           // 00000000B794: D86C8D20 42000004
	ds_read_b32 v67, v4 offset:40480                           // 00000000B79C: D86C9E20 43000004
	ds_read_b32 v68, v4 offset:36160                           // 00000000B7A4: D86C8D40 44000004
	ds_read_b32 v69, v4 offset:40512                           // 00000000B7AC: D86C9E40 45000004
	ds_read_b32 v70, v4 offset:36192                           // 00000000B7B4: D86C8D60 46000004
	ds_read_b32 v71, v4 offset:40544                           // 00000000B7BC: D86C9E60 47000004
	ds_read_b32 v72, v4 offset:44800                           // 00000000B7C4: D86CAF00 48000004
	ds_read_b32 v73, v4 offset:49152                           // 00000000B7CC: D86CC000 49000004
	ds_read_b32 v74, v4 offset:44832                           // 00000000B7D4: D86CAF20 4A000004
	ds_read_b32 v75, v4 offset:49184                           // 00000000B7DC: D86CC020 4B000004
	ds_read_b32 v76, v4 offset:44864                           // 00000000B7E4: D86CAF40 4C000004
	ds_read_b32 v77, v4 offset:49216                           // 00000000B7EC: D86CC040 4D000004
	ds_read_b32 v78, v4 offset:44896                           // 00000000B7F4: D86CAF60 4E000004
	ds_read_b32 v79, v4 offset:49248                           // 00000000B7FC: D86CC060 4F000004
	s_waitcnt lgkmcnt(0)                                       // 00000000B804: BF8CC07F
	s_setvskip s20, 0                                          // 00000000B808: BF108014
	global_atomic_pk_add_bf16 v80, v64, s[8:9]                 // 00000000B80C: DD488000 00084050
	s_setvskip 0, 0                                            // 00000000B814: BF108080
	s_setvskip s20, 0                                          // 00000000B818: BF108014
	global_atomic_pk_add_bf16 v80, v65, s[8:9] offset:256      // 00000000B81C: DD488100 00084150
	s_setvskip 0, 0                                            // 00000000B824: BF108080
	s_setvskip s20, 1                                          // 00000000B828: BF108114
	global_atomic_pk_add_bf16 v82, v66, s[8:9]                 // 00000000B82C: DD488000 00084252
	s_setvskip 0, 0                                            // 00000000B834: BF108080
	s_setvskip s20, 1                                          // 00000000B838: BF108114
	global_atomic_pk_add_bf16 v82, v67, s[8:9] offset:256      // 00000000B83C: DD488100 00084352
	s_setvskip 0, 0                                            // 00000000B844: BF108080
	s_setvskip s20, 2                                          // 00000000B848: BF108214
	global_atomic_pk_add_bf16 v84, v68, s[8:9]                 // 00000000B84C: DD488000 00084454
	s_setvskip 0, 0                                            // 00000000B854: BF108080
	s_setvskip s20, 2                                          // 00000000B858: BF108214
	global_atomic_pk_add_bf16 v84, v69, s[8:9] offset:256      // 00000000B85C: DD488100 00084554
	s_setvskip 0, 0                                            // 00000000B864: BF108080
	s_setvskip s20, 3                                          // 00000000B868: BF108314
	global_atomic_pk_add_bf16 v86, v70, s[8:9]                 // 00000000B86C: DD488000 00084656
	s_setvskip 0, 0                                            // 00000000B874: BF108080
	s_setvskip s20, 3                                          // 00000000B878: BF108314
	global_atomic_pk_add_bf16 v86, v71, s[8:9] offset:256      // 00000000B87C: DD488100 00084756
	s_setvskip 0, 0                                            // 00000000B884: BF108080
	s_setvskip s20, 4                                          // 00000000B888: BF108414
	global_atomic_pk_add_bf16 v88, v72, s[8:9]                 // 00000000B88C: DD488000 00084858
	s_setvskip 0, 0                                            // 00000000B894: BF108080
	s_setvskip s20, 4                                          // 00000000B898: BF108414
	global_atomic_pk_add_bf16 v88, v73, s[8:9] offset:256      // 00000000B89C: DD488100 00084958
	s_setvskip 0, 0                                            // 00000000B8A4: BF108080
	s_setvskip s20, 5                                          // 00000000B8A8: BF108514
	global_atomic_pk_add_bf16 v90, v74, s[8:9]                 // 00000000B8AC: DD488000 00084A5A
	s_setvskip 0, 0                                            // 00000000B8B4: BF108080
	s_setvskip s20, 5                                          // 00000000B8B8: BF108514
	global_atomic_pk_add_bf16 v90, v75, s[8:9] offset:256      // 00000000B8BC: DD488100 00084B5A
	s_setvskip 0, 0                                            // 00000000B8C4: BF108080
	s_setvskip s20, 6                                          // 00000000B8C8: BF108614
	global_atomic_pk_add_bf16 v92, v76, s[8:9]                 // 00000000B8CC: DD488000 00084C5C
	s_setvskip 0, 0                                            // 00000000B8D4: BF108080
	s_setvskip s20, 6                                          // 00000000B8D8: BF108614
	global_atomic_pk_add_bf16 v92, v77, s[8:9] offset:256      // 00000000B8DC: DD488100 00084D5C
	s_setvskip 0, 0                                            // 00000000B8E4: BF108080
	s_setvskip s20, 7                                          // 00000000B8E8: BF108714
	global_atomic_pk_add_bf16 v94, v78, s[8:9]                 // 00000000B8EC: DD488000 00084E5E
	s_setvskip 0, 0                                            // 00000000B8F4: BF108080
	s_setvskip s20, 7                                          // 00000000B8F8: BF108714
	global_atomic_pk_add_bf16 v94, v79, s[8:9] offset:256      // 00000000B8FC: DD488100 00084F5E
	s_setvskip 0, 0                                            // 00000000B904: BF108080

000000000000b908 <label_22C2>:
	s_waitcnt vmcnt(0) expcnt(0) lgkmcnt(0)                    // 00000000B908: BF8C0000
	s_endpgm                                                   // 00000000B90C: BF810000
